;; amdgpu-corpus repo=ROCm/rocFFT kind=compiled arch=gfx950 opt=O3
	.text
	.amdgcn_target "amdgcn-amd-amdhsa--gfx950"
	.amdhsa_code_object_version 6
	.protected	bluestein_single_fwd_len1372_dim1_dp_op_CI_CI ; -- Begin function bluestein_single_fwd_len1372_dim1_dp_op_CI_CI
	.globl	bluestein_single_fwd_len1372_dim1_dp_op_CI_CI
	.p2align	8
	.type	bluestein_single_fwd_len1372_dim1_dp_op_CI_CI,@function
bluestein_single_fwd_len1372_dim1_dp_op_CI_CI: ; @bluestein_single_fwd_len1372_dim1_dp_op_CI_CI
; %bb.0:
	s_load_dwordx4 s[12:15], s[0:1], 0x28
	v_mul_u32_u24_e32 v1, 0x29d, v0
	v_lshrrev_b32_e32 v1, 16, v1
	v_lshl_add_u32 v2, s2, 1, v1
	v_mov_b32_e32 v3, 0
	s_waitcnt lgkmcnt(0)
	v_cmp_gt_u64_e32 vcc, s[12:13], v[2:3]
	s_and_saveexec_b64 s[2:3], vcc
	s_cbranch_execz .LBB0_2
; %bb.1:
	s_load_dwordx4 s[4:7], s[0:1], 0x0
	s_load_dwordx4 s[8:11], s[0:1], 0x18
	s_load_dwordx2 s[2:3], s[0:1], 0x38
	v_mov_b32_e32 v4, s14
	v_mov_b32_e32 v5, s15
	s_mov_b32 s12, 0
	v_mov_b32_e32 v241, s12
	s_waitcnt lgkmcnt(0)
	v_mov_b32_e32 v6, s2
	v_mov_b32_e32 v7, s3
	s_load_dwordx4 s[0:3], s[10:11], 0x0
	v_accvgpr_write_b32 a0, v6
	v_accvgpr_write_b32 a1, v7
	v_and_b32_e32 v6, 1, v1
	v_cmp_eq_u32_e32 vcc, 1, v6
	s_waitcnt lgkmcnt(0)
	v_mad_u64_u32 v[8:9], s[10:11], s2, v2, 0
	s_load_dwordx4 s[8:11], s[8:9], 0x0
	v_mov_b32_e32 v6, 0x55c0
	v_cndmask_b32_e32 v21, 0, v6, vcc
	v_mov_b32_e32 v6, v9
	v_mad_u64_u32 v[6:7], s[2:3], s3, v2, v[6:7]
	v_mul_lo_u16_e32 v1, 0x62, v1
	v_mov_b32_e32 v9, v6
	v_accvgpr_write_b32 a6, v8
	s_waitcnt lgkmcnt(0)
	v_mad_u64_u32 v[6:7], s[2:3], s10, v2, 0
	v_sub_u16_e32 v240, v0, v1
	v_accvgpr_write_b32 a7, v9
	v_mov_b32_e32 v8, v7
	v_mad_u64_u32 v[0:1], s[2:3], s8, v240, 0
	v_mad_u64_u32 v[8:9], s[2:3], s11, v2, v[8:9]
	v_mov_b32_e32 v2, v1
	v_mov_b32_e32 v7, v8
	v_mad_u64_u32 v[8:9], s[2:3], s9, v240, v[2:3]
	v_mov_b32_e32 v1, v8
	v_lshl_add_u64 v[4:5], v[6:7], 4, v[4:5]
	v_lshl_add_u64 v[0:1], v[0:1], 4, v[4:5]
	v_lshlrev_b32_e32 v2, 4, v240
	global_load_dwordx4 v[4:7], v[0:1], off
	global_load_dwordx4 v[12:15], v2, s[4:5]
	v_lshl_add_u64 v[242:243], s[4:5], 0, v[2:3]
	v_mov_b32_e32 v3, 0x2ae0
	v_add_u32_e32 v20, v21, v2
	s_mov_b64 s[10:11], 0x62
	v_lshl_add_u64 v[140:141], v[240:241], 0, s[10:11]
	v_mov_b32_e32 v241, 0xffffdb40
	v_mov_b32_e32 v16, 0x2ae0
	v_and_b32_e32 v37, 1, v240
	s_movk_i32 s24, 0x60
	v_mov_b64_e32 v[188:189], s[6:7]
	s_mov_b32 s12, 0x5476071b
	s_mov_b32 s14, 0xb247c609
	;; [unrolled: 1-line block ×11, first 2 shown]
	s_movk_i32 s25, 0xc4
	s_waitcnt vmcnt(0)
	v_accvgpr_write_b32 a19, v15
	v_mul_f64 v[8:9], v[6:7], v[14:15]
	v_fmac_f64_e32 v[8:9], v[4:5], v[12:13]
	v_mul_f64 v[4:5], v[4:5], v[14:15]
	v_fma_f64 v[10:11], v[6:7], v[12:13], -v[4:5]
	v_accvgpr_write_b32 a18, v14
	v_accvgpr_write_b32 a17, v13
	;; [unrolled: 1-line block ×3, first 2 shown]
	v_mad_u64_u32 v[12:13], s[2:3], s8, v3, v[0:1]
	s_movk_i32 s3, 0x2000
	s_mul_i32 s2, s9, 0x2ae0
	v_add_co_u32_e32 v0, vcc, s3, v242
	v_add_u32_e32 v13, s2, v13
	s_nop 0
	v_addc_co_u32_e32 v1, vcc, 0, v243, vcc
	global_load_dwordx4 v[4:7], v[12:13], off
	global_load_dwordx4 v[22:25], v[0:1], off offset:2784
	ds_write_b128 v20, v[8:11]
	s_mul_i32 s3, s9, 0xffffdb40
	v_mad_u64_u32 v[12:13], s[10:11], s8, v241, v[12:13]
	s_sub_i32 s3, s3, s8
	v_add_u32_e32 v13, s3, v13
	s_movk_i32 s9, 0x3000
	v_add_co_u32_e32 v14, vcc, s9, v242
	s_mov_b32 s9, 0xbfe11646
	s_nop 0
	v_addc_co_u32_e32 v15, vcc, 0, v243, vcc
	s_waitcnt vmcnt(0)
	v_mul_f64 v[8:9], v[6:7], v[24:25]
	v_fmac_f64_e32 v[8:9], v[4:5], v[22:23]
	v_mul_f64 v[4:5], v[4:5], v[24:25]
	v_fma_f64 v[10:11], v[6:7], v[22:23], -v[4:5]
	v_accvgpr_write_b32 a27, v25
	ds_write_b128 v20, v[8:11] offset:10976
	v_accvgpr_write_b32 a26, v24
	v_accvgpr_write_b32 a25, v23
	;; [unrolled: 1-line block ×3, first 2 shown]
	global_load_dwordx4 v[4:7], v[12:13], off
	global_load_dwordx4 v[22:25], v2, s[4:5] offset:1568
	v_mad_u64_u32 v[12:13], s[10:11], s8, v16, v[12:13]
	v_add_u32_e32 v13, s2, v13
	s_waitcnt vmcnt(0)
	v_mul_f64 v[8:9], v[6:7], v[24:25]
	v_fmac_f64_e32 v[8:9], v[4:5], v[22:23]
	v_mul_f64 v[4:5], v[4:5], v[24:25]
	v_accvgpr_write_b32 a12, v22
	v_fma_f64 v[10:11], v[6:7], v[22:23], -v[4:5]
	v_accvgpr_write_b32 a13, v23
	v_accvgpr_write_b32 a14, v24
	;; [unrolled: 1-line block ×3, first 2 shown]
	global_load_dwordx4 v[4:7], v[12:13], off
	global_load_dwordx4 v[22:25], v[14:15], off offset:256
	ds_write_b128 v20, v[8:11] offset:1568
	s_waitcnt vmcnt(0)
	v_mul_f64 v[8:9], v[6:7], v[24:25]
	v_fmac_f64_e32 v[8:9], v[4:5], v[22:23]
	v_mul_f64 v[4:5], v[4:5], v[24:25]
	v_fma_f64 v[10:11], v[6:7], v[22:23], -v[4:5]
	ds_write_b128 v20, v[8:11] offset:12544
	v_mad_u64_u32 v[8:9], s[10:11], s8, v241, v[12:13]
	v_add_u32_e32 v9, s3, v9
	global_load_dwordx4 v[4:7], v[8:9], off
	global_load_dwordx4 v[10:13], v2, s[4:5] offset:3136
	v_accvgpr_write_b32 a20, v22
	v_accvgpr_write_b32 a21, v23
	;; [unrolled: 1-line block ×4, first 2 shown]
	s_mov_b32 s10, 0xaaaaaaaa
	s_mov_b32 s11, 0xbff2aaaa
	s_waitcnt vmcnt(0)
	v_mul_f64 v[2:3], v[6:7], v[12:13]
	v_fmac_f64_e32 v[2:3], v[4:5], v[10:11]
	v_mul_f64 v[4:5], v[4:5], v[12:13]
	v_accvgpr_write_b32 a31, v13
	v_fma_f64 v[4:5], v[6:7], v[10:11], -v[4:5]
	v_accvgpr_write_b32 a30, v12
	v_accvgpr_write_b32 a29, v11
	;; [unrolled: 1-line block ×3, first 2 shown]
	v_mad_u64_u32 v[10:11], s[4:5], s8, v16, v[8:9]
	ds_write_b128 v20, v[2:5] offset:3136
	v_add_u32_e32 v11, s2, v11
	global_load_dwordx4 v[2:5], v[10:11], off
	global_load_dwordx4 v[22:25], v[14:15], off offset:1824
	v_mad_u64_u32 v[10:11], s[4:5], s8, v241, v[10:11]
	s_movk_i32 s4, 0x1000
	s_nop 0
	v_add_co_u32_e32 v12, vcc, s4, v242
	v_add_u32_e32 v11, s3, v11
	s_nop 0
	v_addc_co_u32_e32 v13, vcc, 0, v243, vcc
	s_waitcnt vmcnt(0)
	v_mul_f64 v[6:7], v[4:5], v[24:25]
	v_fmac_f64_e32 v[6:7], v[2:3], v[22:23]
	v_mul_f64 v[2:3], v[2:3], v[24:25]
	v_accvgpr_write_b32 a35, v25
	v_fma_f64 v[8:9], v[4:5], v[22:23], -v[2:3]
	v_accvgpr_write_b32 a34, v24
	v_accvgpr_write_b32 a33, v23
	;; [unrolled: 1-line block ×3, first 2 shown]
	global_load_dwordx4 v[2:5], v[10:11], off
	global_load_dwordx4 v[22:25], v[12:13], off offset:608
	ds_write_b128 v20, v[6:9] offset:14112
	v_mad_u64_u32 v[10:11], s[4:5], s8, v16, v[10:11]
	v_add_u32_e32 v11, s2, v11
	s_waitcnt vmcnt(0)
	v_mul_f64 v[6:7], v[4:5], v[24:25]
	v_fmac_f64_e32 v[6:7], v[2:3], v[22:23]
	v_mul_f64 v[2:3], v[2:3], v[24:25]
	v_fma_f64 v[8:9], v[4:5], v[22:23], -v[2:3]
	ds_write_b128 v20, v[6:9] offset:4704
	global_load_dwordx4 v[2:5], v[10:11], off
	global_load_dwordx4 v[236:239], v[14:15], off offset:3392
	v_mad_u64_u32 v[10:11], s[4:5], s8, v241, v[10:11]
	v_add_u32_e32 v11, s3, v11
	v_accvgpr_write_b32 a39, v25
	v_accvgpr_write_b32 a38, v24
	;; [unrolled: 1-line block ×4, first 2 shown]
	s_waitcnt vmcnt(0)
	v_mul_f64 v[6:7], v[4:5], v[238:239]
	v_fmac_f64_e32 v[6:7], v[2:3], v[236:237]
	v_mul_f64 v[2:3], v[2:3], v[238:239]
	v_fma_f64 v[8:9], v[4:5], v[236:237], -v[2:3]
	ds_write_b128 v20, v[6:9] offset:15680
	global_load_dwordx4 v[2:5], v[10:11], off
	global_load_dwordx4 v[40:43], v[12:13], off offset:2176
	v_mad_u64_u32 v[10:11], s[4:5], s8, v16, v[10:11]
	s_movk_i32 s4, 0x4000
	s_nop 0
	v_add_co_u32_e32 v14, vcc, s4, v242
	v_add_u32_e32 v11, s2, v11
	s_nop 0
	v_addc_co_u32_e32 v15, vcc, 0, v243, vcc
	global_load_dwordx4 v[44:47], v[14:15], off offset:864
	s_waitcnt vmcnt(1)
	v_mul_f64 v[6:7], v[4:5], v[42:43]
	v_fmac_f64_e32 v[6:7], v[2:3], v[40:41]
	v_mul_f64 v[2:3], v[2:3], v[42:43]
	v_fma_f64 v[8:9], v[4:5], v[40:41], -v[2:3]
	global_load_dwordx4 v[2:5], v[10:11], off
	ds_write_b128 v20, v[6:9] offset:6272
	v_mad_u64_u32 v[10:11], s[4:5], s8, v241, v[10:11]
	v_add_u32_e32 v11, s3, v11
	s_waitcnt vmcnt(0)
	v_mul_f64 v[6:7], v[4:5], v[46:47]
	v_fmac_f64_e32 v[6:7], v[2:3], v[44:45]
	v_mul_f64 v[2:3], v[2:3], v[46:47]
	v_fma_f64 v[8:9], v[4:5], v[44:45], -v[2:3]
	ds_write_b128 v20, v[6:9] offset:17248
	global_load_dwordx4 v[2:5], v[10:11], off
	global_load_dwordx4 v[48:51], v[12:13], off offset:3744
	v_mad_u64_u32 v[10:11], s[4:5], s8, v16, v[10:11]
	v_add_u32_e32 v11, s2, v11
	v_mad_u64_u32 v[12:13], s[4:5], s8, v241, v[10:11]
	v_add_u32_e32 v13, s3, v13
	s_waitcnt vmcnt(0)
	v_mul_f64 v[6:7], v[4:5], v[50:51]
	v_fmac_f64_e32 v[6:7], v[2:3], v[48:49]
	v_mul_f64 v[2:3], v[2:3], v[50:51]
	v_fma_f64 v[8:9], v[4:5], v[48:49], -v[2:3]
	ds_write_b128 v20, v[6:9] offset:7840
	global_load_dwordx4 v[2:5], v[10:11], off
	global_load_dwordx4 v[52:55], v[14:15], off offset:2432
	s_waitcnt vmcnt(0)
	v_mul_f64 v[6:7], v[4:5], v[54:55]
	v_fmac_f64_e32 v[6:7], v[2:3], v[52:53]
	v_mul_f64 v[2:3], v[2:3], v[54:55]
	v_fma_f64 v[8:9], v[4:5], v[52:53], -v[2:3]
	ds_write_b128 v20, v[6:9] offset:18816
	global_load_dwordx4 v[4:7], v[12:13], off
	global_load_dwordx4 v[22:25], v[0:1], off offset:1216
	v_lshlrev_b32_e32 v2, 1, v240
	v_add_u32_e32 v32, 0x188, v2
	v_add_u32_e32 v33, 0x24c, v2
	;; [unrolled: 1-line block ×5, first 2 shown]
	v_lshlrev_b32_e32 v3, 1, v140
	s_waitcnt vmcnt(0)
	v_mul_f64 v[8:9], v[6:7], v[24:25]
	v_mul_f64 v[0:1], v[4:5], v[24:25]
	v_fmac_f64_e32 v[8:9], v[4:5], v[22:23]
	v_fma_f64 v[10:11], v[6:7], v[22:23], -v[0:1]
	v_mad_u64_u32 v[0:1], s[4:5], s8, v16, v[12:13]
	ds_write_b128 v20, v[8:11] offset:9408
	v_add_u32_e32 v1, s2, v1
	global_load_dwordx4 v[4:7], v[0:1], off
	global_load_dwordx4 v[8:11], v[14:15], off offset:4000
	v_accvgpr_write_b32 a8, v22
	v_accvgpr_write_b32 a9, v23
	v_accvgpr_write_b32 a10, v24
	v_accvgpr_write_b32 a11, v25
	s_movk_i32 s2, 0xfc
	s_mov_b32 s8, 0xe976ee23
	s_mov_b32 s4, 0x429ad128
	;; [unrolled: 1-line block ×4, first 2 shown]
	s_waitcnt vmcnt(0)
	v_mov_b64_e32 v[14:15], v[10:11]
	v_mov_b64_e32 v[12:13], v[8:9]
	v_mul_f64 v[8:9], v[6:7], v[14:15]
	v_mul_f64 v[0:1], v[4:5], v[14:15]
	v_fmac_f64_e32 v[8:9], v[4:5], v[12:13]
	v_fma_f64 v[10:11], v[6:7], v[12:13], -v[0:1]
	v_accvgpr_write_b32 a2, v12
	v_accvgpr_write_b32 a3, v13
	v_accvgpr_write_b32 a4, v14
	v_accvgpr_write_b32 a5, v15
	ds_write_b128 v20, v[8:11] offset:20384
	s_waitcnt lgkmcnt(0)
	s_barrier
	ds_read_b128 v[4:7], v20
	ds_read_b128 v[8:11], v20 offset:10976
	ds_read_b128 v[12:15], v20 offset:1568
	ds_read_b128 v[16:19], v20 offset:12544
	ds_read_b128 v[22:25], v20 offset:3136
	ds_read_b128 v[56:59], v20 offset:14112
	ds_read_b128 v[60:63], v20 offset:4704
	ds_read_b128 v[64:67], v20 offset:15680
	ds_read_b128 v[68:71], v20 offset:6272
	ds_read_b128 v[72:75], v20 offset:17248
	ds_read_b128 v[76:79], v20 offset:7840
	ds_read_b128 v[80:83], v20 offset:18816
	ds_read_b128 v[84:87], v20 offset:9408
	ds_read_b128 v[88:91], v20 offset:20384
	s_waitcnt lgkmcnt(12)
	v_add_f64 v[8:9], v[4:5], -v[8:9]
	v_add_f64 v[10:11], v[6:7], -v[10:11]
	v_fma_f64 v[4:5], v[4:5], 2.0, -v[8:9]
	v_fma_f64 v[6:7], v[6:7], 2.0, -v[10:11]
	s_waitcnt lgkmcnt(10)
	v_add_f64 v[16:17], v[12:13], -v[16:17]
	v_add_f64 v[18:19], v[14:15], -v[18:19]
	v_lshl_add_u32 v0, v240, 5, v21
	v_fma_f64 v[12:13], v[12:13], 2.0, -v[16:17]
	v_fma_f64 v[14:15], v[14:15], 2.0, -v[18:19]
	s_waitcnt lgkmcnt(8)
	v_add_f64 v[56:57], v[22:23], -v[56:57]
	v_add_f64 v[58:59], v[24:25], -v[58:59]
	s_waitcnt lgkmcnt(0)
	s_barrier
	ds_write_b128 v0, v[4:7]
	ds_write_b128 v0, v[8:11] offset:16
	v_accvgpr_write_b32 a52, v0
	v_lshl_add_u32 v0, v140, 5, v21
	v_fma_f64 v[22:23], v[22:23], 2.0, -v[56:57]
	v_fma_f64 v[24:25], v[24:25], 2.0, -v[58:59]
	v_add_f64 v[64:65], v[60:61], -v[64:65]
	v_add_f64 v[66:67], v[62:63], -v[66:67]
	ds_write_b128 v0, v[12:15]
	ds_write_b128 v0, v[16:19] offset:16
	v_accvgpr_write_b32 a51, v0
	v_lshl_add_u32 v0, v32, 4, v21
	v_fma_f64 v[60:61], v[60:61], 2.0, -v[64:65]
	v_fma_f64 v[62:63], v[62:63], 2.0, -v[66:67]
	v_add_f64 v[72:73], v[68:69], -v[72:73]
	v_add_f64 v[74:75], v[70:71], -v[74:75]
	;; [unrolled: 8-line block ×4, first 2 shown]
	ds_write_b128 v0, v[68:71]
	ds_write_b128 v0, v[72:75] offset:16
	v_accvgpr_write_b32 a48, v0
	v_lshl_add_u32 v0, v35, 4, v21
	v_fma_f64 v[84:85], v[84:85], 2.0, -v[88:89]
	v_fma_f64 v[86:87], v[86:87], 2.0, -v[90:91]
	ds_write_b128 v0, v[76:79]
	ds_write_b128 v0, v[80:83] offset:16
	v_accvgpr_write_b32 a47, v0
	v_lshl_add_u32 v0, v36, 4, v21
	ds_write_b128 v0, v[84:87]
	ds_write_b128 v0, v[88:91] offset:16
	v_accvgpr_write_b32 a46, v0
	v_lshlrev_b32_e32 v0, 4, v37
	s_waitcnt lgkmcnt(0)
	s_barrier
	ds_read_b128 v[84:87], v20
	ds_read_b128 v[4:7], v20 offset:10976
	ds_read_b128 v[80:83], v20 offset:1568
	;; [unrolled: 1-line block ×13, first 2 shown]
	global_load_dwordx4 v[76:79], v0, s[6:7]
	s_waitcnt lgkmcnt(0)
	s_barrier
	s_mov_b32 s6, 0x37e14327
	s_mov_b32 s7, 0x3fe948f6
	s_waitcnt vmcnt(0)
	v_mul_f64 v[0:1], v[6:7], v[78:79]
	v_fma_f64 v[0:1], v[4:5], v[76:77], -v[0:1]
	v_mul_f64 v[26:27], v[4:5], v[78:79]
	v_mul_f64 v[4:5], v[10:11], v[78:79]
	v_fma_f64 v[28:29], v[8:9], v[76:77], -v[4:5]
	v_mul_f64 v[4:5], v[14:15], v[78:79]
	v_fma_f64 v[96:97], v[12:13], v[76:77], -v[4:5]
	v_mul_f64 v[4:5], v[18:19], v[78:79]
	v_fma_f64 v[100:101], v[16:17], v[76:77], -v[4:5]
	v_mul_f64 v[4:5], v[24:25], v[78:79]
	v_fma_f64 v[104:105], v[22:23], v[76:77], -v[4:5]
	v_mul_f64 v[4:5], v[90:91], v[78:79]
	v_fmac_f64_e32 v[26:27], v[6:7], v[76:77]
	v_fma_f64 v[108:109], v[88:89], v[76:77], -v[4:5]
	v_mul_f64 v[4:5], v[94:95], v[78:79]
	v_mul_f64 v[30:31], v[8:9], v[78:79]
	v_fma_f64 v[112:113], v[92:93], v[76:77], -v[4:5]
	v_add_f64 v[4:5], v[84:85], -v[0:1]
	v_add_f64 v[6:7], v[86:87], -v[26:27]
	v_and_or_b32 v0, v2, s2, v37
	v_fmac_f64_e32 v[30:31], v[10:11], v[76:77]
	v_mul_f64 v[98:99], v[12:13], v[78:79]
	v_fma_f64 v[8:9], v[84:85], 2.0, -v[4:5]
	v_fma_f64 v[10:11], v[86:87], 2.0, -v[6:7]
	v_lshl_add_u32 v0, v0, 4, v21
	s_movk_i32 s2, 0x1fc
	v_fmac_f64_e32 v[98:99], v[14:15], v[76:77]
	v_mul_f64 v[102:103], v[16:17], v[78:79]
	v_add_f64 v[12:13], v[80:81], -v[28:29]
	v_add_f64 v[14:15], v[82:83], -v[30:31]
	ds_write_b128 v0, v[8:11]
	ds_write_b128 v0, v[4:7] offset:32
	v_accvgpr_write_b32 a45, v0
	v_and_or_b32 v0, v3, s2, v37
	v_fmac_f64_e32 v[102:103], v[18:19], v[76:77]
	v_mul_f64 v[106:107], v[22:23], v[78:79]
	v_fma_f64 v[16:17], v[80:81], 2.0, -v[12:13]
	v_fma_f64 v[18:19], v[82:83], 2.0, -v[14:15]
	v_lshl_add_u32 v0, v0, 4, v21
	s_movk_i32 s2, 0x3fc
	v_fmac_f64_e32 v[106:107], v[24:25], v[76:77]
	v_add_f64 v[22:23], v[72:73], -v[96:97]
	v_add_f64 v[24:25], v[74:75], -v[98:99]
	ds_write_b128 v0, v[16:19]
	ds_write_b128 v0, v[12:15] offset:32
	v_accvgpr_write_b32 a44, v0
	v_and_or_b32 v0, v32, s2, v37
	v_fma_f64 v[72:73], v[72:73], 2.0, -v[22:23]
	v_fma_f64 v[74:75], v[74:75], 2.0, -v[24:25]
	v_lshl_add_u32 v0, v0, 4, v21
	v_add_f64 v[80:81], v[68:69], -v[100:101]
	v_add_f64 v[82:83], v[70:71], -v[102:103]
	ds_write_b128 v0, v[72:75]
	ds_write_b128 v0, v[22:25] offset:32
	v_accvgpr_write_b32 a43, v0
	v_and_or_b32 v0, v33, s2, v37
	v_fma_f64 v[68:69], v[68:69], 2.0, -v[80:81]
	v_fma_f64 v[70:71], v[70:71], 2.0, -v[82:83]
	v_lshl_add_u32 v0, v0, 4, v21
	s_movk_i32 s2, 0x7fc
	v_mul_f64 v[110:111], v[88:89], v[78:79]
	v_add_f64 v[84:85], v[64:65], -v[104:105]
	v_add_f64 v[86:87], v[66:67], -v[106:107]
	ds_write_b128 v0, v[68:71]
	ds_write_b128 v0, v[80:83] offset:32
	v_accvgpr_write_b32 a42, v0
	v_and_or_b32 v0, v34, s2, v37
	v_fmac_f64_e32 v[110:111], v[90:91], v[76:77]
	v_fma_f64 v[64:65], v[64:65], 2.0, -v[84:85]
	v_fma_f64 v[66:67], v[66:67], 2.0, -v[86:87]
	v_lshl_add_u32 v0, v0, 4, v21
	v_mul_f64 v[114:115], v[92:93], v[78:79]
	v_add_f64 v[88:89], v[60:61], -v[108:109]
	v_add_f64 v[90:91], v[62:63], -v[110:111]
	ds_write_b128 v0, v[64:67]
	ds_write_b128 v0, v[84:87] offset:32
	v_accvgpr_write_b32 a41, v0
	v_and_or_b32 v0, v35, s2, v37
	v_fmac_f64_e32 v[114:115], v[94:95], v[76:77]
	v_fma_f64 v[60:61], v[60:61], 2.0, -v[88:89]
	v_fma_f64 v[62:63], v[62:63], 2.0, -v[90:91]
	v_lshl_add_u32 v0, v0, 4, v21
	s_movk_i32 s2, 0x5fc
	v_add_f64 v[92:93], v[56:57], -v[112:113]
	v_add_f64 v[94:95], v[58:59], -v[114:115]
	ds_write_b128 v0, v[60:63]
	ds_write_b128 v0, v[88:91] offset:32
	v_accvgpr_write_b32 a40, v0
	v_and_or_b32 v0, v36, s2, v37
	v_and_b32_e32 v22, 3, v240
	v_fma_f64 v[56:57], v[56:57], 2.0, -v[92:93]
	v_fma_f64 v[58:59], v[58:59], 2.0, -v[94:95]
	v_lshl_add_u32 v37, v0, 4, v21
	v_mad_u64_u32 v[24:25], s[2:3], v22, s24, v[188:189]
	ds_write_b128 v37, v[56:59]
	ds_write_b128 v37, v[92:95] offset:32
	s_waitcnt lgkmcnt(0)
	s_barrier
	ds_read_b128 v[112:115], v20
	ds_read_b128 v[0:3], v20 offset:3136
	ds_read_b128 v[4:7], v20 offset:6272
	;; [unrolled: 1-line block ×13, first 2 shown]
	global_load_dwordx4 v[56:59], v[24:25], off offset:80
	global_load_dwordx4 v[60:63], v[24:25], off offset:64
	;; [unrolled: 1-line block ×6, first 2 shown]
	v_and_b32_e32 v24, 3, v140
	v_lshrrev_b32_e32 v23, 2, v240
	v_mul_u32_u24_e32 v23, 28, v23
	v_or_b32_e32 v22, v23, v22
	s_waitcnt vmcnt(5) lgkmcnt(9)
	v_mul_f64 v[134:135], v[16:17], v[58:59]
	v_fmac_f64_e32 v[134:135], v[18:19], v[56:57]
	s_waitcnt vmcnt(3)
	v_mul_f64 v[10:11], v[4:5], v[66:67]
	s_waitcnt vmcnt(2)
	v_mul_f64 v[8:9], v[2:3], v[74:75]
	v_fma_f64 v[136:137], v[0:1], v[72:73], -v[8:9]
	v_mul_f64 v[138:139], v[0:1], v[74:75]
	v_mul_f64 v[0:1], v[6:7], v[66:67]
	v_fma_f64 v[8:9], v[4:5], v[64:65], -v[0:1]
	v_mul_f64 v[0:1], v[14:15], v[62:63]
	v_fma_f64 v[4:5], v[12:13], v[60:61], -v[0:1]
	v_mul_f64 v[0:1], v[18:19], v[58:59]
	v_fmac_f64_e32 v[10:11], v[6:7], v[64:65]
	v_mul_f64 v[6:7], v[12:13], v[62:63]
	v_fma_f64 v[132:133], v[16:17], v[56:57], -v[0:1]
	s_waitcnt vmcnt(0) lgkmcnt(8)
	v_mul_f64 v[0:1], v[90:91], v[82:83]
	v_fmac_f64_e32 v[6:7], v[14:15], v[60:61]
	v_fma_f64 v[154:155], v[88:89], v[80:81], -v[0:1]
	v_mul_f64 v[156:157], v[88:89], v[82:83]
	s_waitcnt lgkmcnt(7)
	v_mul_f64 v[0:1], v[86:87], v[70:71]
	v_mul_f64 v[14:15], v[84:85], v[70:71]
	v_mad_u64_u32 v[16:17], s[2:3], v24, s24, v[188:189]
	v_fmac_f64_e32 v[156:157], v[90:91], v[80:81]
	v_fma_f64 v[12:13], v[84:85], v[68:69], -v[0:1]
	v_fmac_f64_e32 v[14:15], v[86:87], v[68:69]
	global_load_dwordx4 v[84:87], v[16:17], off offset:80
	global_load_dwordx4 v[88:91], v[16:17], off offset:64
	global_load_dwordx4 v[92:95], v[16:17], off offset:48
	global_load_dwordx4 v[100:103], v[16:17], off offset:32
	v_fmac_f64_e32 v[138:139], v[2:3], v[72:73]
	v_add_f64 v[26:27], v[136:137], v[12:13]
	v_add_f64 v[30:31], v[8:9], v[154:155]
	;; [unrolled: 1-line block ×3, first 2 shown]
	v_add_f64 v[8:9], v[8:9], -v[154:155]
	v_add_f64 v[12:13], v[136:137], -v[12:13]
	s_mov_b32 s2, 0x36b3c0b5
	v_add_f64 v[14:15], v[138:139], -v[14:15]
	s_mov_b32 s3, 0x3fac98ee
	s_waitcnt vmcnt(3) lgkmcnt(2)
	v_mul_f64 v[148:149], v[96:97], v[86:87]
	s_waitcnt vmcnt(2)
	v_mul_f64 v[18:19], v[106:107], v[90:91]
	v_fma_f64 v[142:143], v[104:105], v[88:89], -v[18:19]
	v_mul_f64 v[144:145], v[104:105], v[90:91]
	v_mul_f64 v[18:19], v[98:99], v[86:87]
	v_fmac_f64_e32 v[144:145], v[106:107], v[88:89]
	v_fma_f64 v[146:147], v[96:97], v[84:85], -v[18:19]
	v_fmac_f64_e32 v[148:149], v[98:99], v[84:85]
	global_load_dwordx4 v[96:99], v[16:17], off offset:112
	global_load_dwordx4 v[104:107], v[16:17], off offset:96
	s_waitcnt vmcnt(2)
	v_mul_f64 v[0:1], v[130:131], v[102:103]
	v_fma_f64 v[150:151], v[128:129], v[100:101], -v[0:1]
	v_mul_f64 v[0:1], v[126:127], v[94:95]
	v_mul_f64 v[2:3], v[124:125], v[94:95]
	;; [unrolled: 1-line block ×3, first 2 shown]
	v_fma_f64 v[0:1], v[124:125], v[92:93], -v[0:1]
	v_fmac_f64_e32 v[2:3], v[126:127], v[92:93]
	v_add_f64 v[126:127], v[30:31], -v[26:27]
	v_fmac_f64_e32 v[152:153], v[130:131], v[100:101]
	s_waitcnt lgkmcnt(0)
	s_barrier
	s_waitcnt vmcnt(1)
	v_mul_f64 v[18:19], v[116:117], v[98:99]
	s_waitcnt vmcnt(0)
	v_mul_f64 v[16:17], v[122:123], v[106:107]
	v_fma_f64 v[158:159], v[120:121], v[104:105], -v[16:17]
	v_mul_f64 v[160:161], v[120:121], v[106:107]
	v_mul_f64 v[16:17], v[118:119], v[98:99]
	v_fmac_f64_e32 v[160:161], v[122:123], v[104:105]
	v_fma_f64 v[16:17], v[116:117], v[96:97], -v[16:17]
	v_fmac_f64_e32 v[18:19], v[118:119], v[96:97]
	v_add_f64 v[116:117], v[10:11], v[156:157]
	v_add_f64 v[118:119], v[4:5], v[132:133]
	;; [unrolled: 1-line block ×4, first 2 shown]
	v_add_f64 v[4:5], v[132:133], -v[4:5]
	v_add_f64 v[124:125], v[116:117], v[28:29]
	v_add_f64 v[26:27], v[26:27], -v[118:119]
	v_add_f64 v[30:31], v[118:119], -v[30:31]
	v_add_f64 v[118:119], v[118:119], v[122:123]
	v_add_f64 v[10:11], v[10:11], -v[156:157]
	v_add_f64 v[6:7], v[134:135], -v[6:7]
	;; [unrolled: 1-line block ×5, first 2 shown]
	v_add_f64 v[130:131], v[4:5], v[8:9]
	v_add_f64 v[120:121], v[120:121], v[124:125]
	;; [unrolled: 1-line block ×3, first 2 shown]
	v_add_f64 v[134:135], v[4:5], -v[8:9]
	v_add_f64 v[136:137], v[6:7], -v[10:11]
	;; [unrolled: 1-line block ×4, first 2 shown]
	v_add_f64 v[12:13], v[130:131], v[12:13]
	v_add_f64 v[114:115], v[114:115], v[120:121]
	v_mov_b64_e32 v[130:131], v[112:113]
	v_add_f64 v[132:133], v[6:7], v[10:11]
	v_add_f64 v[6:7], v[14:15], -v[6:7]
	v_add_f64 v[10:11], v[10:11], -v[14:15]
	v_mul_f64 v[26:27], v[26:27], s[6:7]
	v_mul_f64 v[122:123], v[30:31], s[2:3]
	;; [unrolled: 1-line block ×4, first 2 shown]
	v_fmac_f64_e32 v[130:131], s[10:11], v[118:119]
	v_mov_b64_e32 v[118:119], v[114:115]
	v_add_f64 v[14:15], v[132:133], v[14:15]
	v_mul_f64 v[28:29], v[28:29], s[6:7]
	v_mul_f64 v[138:139], v[134:135], s[8:9]
	;; [unrolled: 1-line block ×4, first 2 shown]
	v_fmac_f64_e32 v[118:119], s[10:11], v[120:121]
	v_fma_f64 v[120:121], v[126:127], s[12:13], -v[122:123]
	v_fma_f64 v[122:123], v[128:129], s[12:13], -v[124:125]
	;; [unrolled: 1-line block ×3, first 2 shown]
	v_fmac_f64_e32 v[26:27], s[2:3], v[30:31]
	v_fma_f64 v[10:11], v[10:11], s[22:23], -v[136:137]
	v_fmac_f64_e32 v[136:137], s[14:15], v[6:7]
	v_fma_f64 v[30:31], v[128:129], s[16:17], -v[28:29]
	;; [unrolled: 2-line block ×3, first 2 shown]
	v_fmac_f64_e32 v[138:139], s[14:15], v[4:5]
	v_fmac_f64_e32 v[134:135], s[18:19], v[4:5]
	v_add_f64 v[4:5], v[26:27], v[130:131]
	v_fmac_f64_e32 v[136:137], s[20:21], v[14:15]
	v_fmac_f64_e32 v[132:133], s[18:19], v[6:7]
	v_add_f64 v[6:7], v[28:29], v[118:119]
	v_add_f64 v[26:27], v[120:121], v[130:131]
	;; [unrolled: 1-line block ×4, first 2 shown]
	v_fmac_f64_e32 v[138:139], s[20:21], v[12:13]
	v_fmac_f64_e32 v[8:9], s[20:21], v[12:13]
	;; [unrolled: 1-line block ×3, first 2 shown]
	v_add_f64 v[120:121], v[136:137], v[4:5]
	v_add_f64 v[136:137], v[4:5], -v[136:137]
	v_add_f64 v[4:5], v[150:151], v[16:17]
	v_add_f64 v[12:13], v[0:1], v[158:159]
	;; [unrolled: 1-line block ×3, first 2 shown]
	v_fmac_f64_e32 v[10:11], s[20:21], v[14:15]
	v_fmac_f64_e32 v[132:133], s[20:21], v[14:15]
	v_add_f64 v[122:123], v[6:7], -v[138:139]
	v_add_f64 v[118:119], v[30:31], -v[134:135]
	v_add_f64 v[126:127], v[8:9], v[28:29]
	v_add_f64 v[130:131], v[28:29], -v[8:9]
	v_add_f64 v[134:135], v[134:135], v[30:31]
	v_add_f64 v[138:139], v[138:139], v[6:7]
	;; [unrolled: 1-line block ×3, first 2 shown]
	v_add_f64 v[8:9], v[150:151], -v[16:17]
	v_add_f64 v[14:15], v[2:3], v[160:161]
	v_add_f64 v[16:17], v[142:143], v[146:147]
	;; [unrolled: 1-line block ×3, first 2 shown]
	v_add_f64 v[124:125], v[26:27], -v[10:11]
	v_add_f64 v[128:129], v[10:11], v[26:27]
	v_add_f64 v[10:11], v[152:153], -v[18:19]
	v_add_f64 v[0:1], v[0:1], -v[158:159]
	v_add_f64 v[18:19], v[144:145], v[148:149]
	v_add_f64 v[26:27], v[146:147], -v[142:143]
	;; [unrolled: 3-line block ×3, first 2 shown]
	v_add_f64 v[4:5], v[4:5], -v[16:17]
	v_add_f64 v[12:13], v[16:17], -v[12:13]
	v_add_f64 v[16:17], v[16:17], v[30:31]
	v_add_f64 v[2:3], v[2:3], -v[160:161]
	v_add_f64 v[146:147], v[14:15], -v[6:7]
	;; [unrolled: 1-line block ×4, first 2 shown]
	v_add_f64 v[148:149], v[26:27], v[0:1]
	v_add_f64 v[152:153], v[26:27], -v[0:1]
	v_add_f64 v[156:157], v[0:1], -v[8:9]
	v_add_f64 v[18:19], v[18:19], v[142:143]
	v_add_f64 v[0:1], v[108:109], v[16:17]
	;; [unrolled: 1-line block ×3, first 2 shown]
	v_add_f64 v[132:133], v[154:155], -v[132:133]
	v_add_f64 v[150:151], v[28:29], v[2:3]
	v_add_f64 v[154:155], v[28:29], -v[2:3]
	v_add_f64 v[26:27], v[8:9], -v[26:27]
	;; [unrolled: 1-line block ×3, first 2 shown]
	v_add_f64 v[8:9], v[148:149], v[8:9]
	v_add_f64 v[2:3], v[110:111], v[18:19]
	v_mul_f64 v[148:149], v[152:153], s[8:9]
	v_mov_b64_e32 v[152:153], v[0:1]
	v_add_f64 v[28:29], v[10:11], -v[28:29]
	v_mul_f64 v[4:5], v[4:5], s[6:7]
	v_mul_f64 v[6:7], v[6:7], s[6:7]
	;; [unrolled: 1-line block ×5, first 2 shown]
	v_fmac_f64_e32 v[152:153], s[10:11], v[16:17]
	v_mov_b64_e32 v[16:17], v[2:3]
	v_add_f64 v[10:11], v[150:151], v[10:11]
	v_mul_f64 v[110:111], v[156:157], s[4:5]
	v_fmac_f64_e32 v[16:17], s[10:11], v[18:19]
	v_fma_f64 v[18:19], v[144:145], s[12:13], -v[30:31]
	v_fma_f64 v[30:31], v[146:147], s[12:13], -v[108:109]
	;; [unrolled: 1-line block ×3, first 2 shown]
	v_fmac_f64_e32 v[4:5], s[2:3], v[12:13]
	v_fma_f64 v[12:13], v[146:147], s[16:17], -v[6:7]
	v_fma_f64 v[146:147], v[158:159], s[22:23], -v[142:143]
	v_fmac_f64_e32 v[142:143], s[14:15], v[28:29]
	v_fma_f64 v[144:145], v[156:157], s[22:23], -v[148:149]
	v_fmac_f64_e32 v[148:149], s[14:15], v[26:27]
	v_fmac_f64_e32 v[110:111], s[18:19], v[26:27]
	v_add_f64 v[26:27], v[4:5], v[152:153]
	v_fmac_f64_e32 v[142:143], s[20:21], v[10:11]
	v_mul_f64 v[150:151], v[158:159], s[4:5]
	v_add_f64 v[4:5], v[142:143], v[26:27]
	v_add_f64 v[142:143], v[26:27], -v[142:143]
	v_lshl_add_u32 v27, v22, 4, v21
	v_lshrrev_b32_e32 v22, 2, v140
	v_fmac_f64_e32 v[150:151], s[18:19], v[28:29]
	v_mul_u32_u24_e32 v22, 28, v22
	v_fmac_f64_e32 v[6:7], s[2:3], v[14:15]
	v_add_f64 v[108:109], v[108:109], v[152:153]
	v_fmac_f64_e32 v[150:151], s[20:21], v[10:11]
	v_or_b32_e32 v22, v22, v24
	v_add_f64 v[28:29], v[6:7], v[16:17]
	v_add_f64 v[18:19], v[18:19], v[152:153]
	;; [unrolled: 1-line block ×4, first 2 shown]
	v_fmac_f64_e32 v[148:149], s[20:21], v[8:9]
	v_fmac_f64_e32 v[144:145], s[20:21], v[8:9]
	;; [unrolled: 1-line block ×4, first 2 shown]
	v_add_f64 v[8:9], v[150:151], v[108:109]
	v_lshl_add_u32 v36, v22, 4, v21
	v_add_f64 v[6:7], v[28:29], -v[148:149]
	v_add_f64 v[10:11], v[152:153], -v[110:111]
	;; [unrolled: 1-line block ×3, first 2 shown]
	v_add_f64 v[14:15], v[144:145], v[30:31]
	v_add_f64 v[16:17], v[146:147], v[18:19]
	v_add_f64 v[18:19], v[30:31], -v[144:145]
	v_add_f64 v[108:109], v[108:109], -v[150:151]
	v_add_f64 v[110:111], v[110:111], v[152:153]
	v_add_f64 v[144:145], v[148:149], v[28:29]
	ds_write_b128 v27, v[112:115]
	ds_write_b128 v27, v[120:123] offset:64
	ds_write_b128 v27, v[116:119] offset:128
	;; [unrolled: 1-line block ×6, first 2 shown]
	ds_write_b128 v36, v[0:3]
	ds_write_b128 v36, v[4:7] offset:64
	ds_write_b128 v36, v[8:11] offset:128
	;; [unrolled: 1-line block ×6, first 2 shown]
	v_lshrrev_b16_e32 v8, 2, v240
	v_and_b32_e32 v8, 63, v8
	v_mul_lo_u16_e32 v22, 37, v8
	v_mov_b32_e32 v24, 28
	v_mul_lo_u16_sdwa v8, v22, v24 dst_sel:DWORD dst_unused:UNUSED_PAD src0_sel:BYTE_1 src1_sel:DWORD
	v_sub_u16_e32 v8, v240, v8
	v_and_b32_e32 v25, 0xff, v8
	v_mad_u64_u32 v[18:19], s[26:27], v25, s24, v[188:189]
	s_waitcnt lgkmcnt(0)
	s_barrier
	ds_read_b128 v[160:163], v20
	ds_read_b128 v[0:3], v20 offset:3136
	ds_read_b128 v[4:7], v20 offset:6272
	;; [unrolled: 1-line block ×13, first 2 shown]
	global_load_dwordx4 v[108:111], v[18:19], off offset:464
	global_load_dwordx4 v[112:115], v[18:19], off offset:448
	global_load_dwordx4 v[116:119], v[18:19], off offset:432
	global_load_dwordx4 v[120:123], v[18:19], off offset:416
	global_load_dwordx4 v[124:127], v[18:19], off offset:496
	global_load_dwordx4 v[128:131], v[18:19], off offset:480
	s_waitcnt vmcnt(5) lgkmcnt(9)
	v_mul_f64 v[182:183], v[14:15], v[110:111]
	v_fmac_f64_e32 v[182:183], v[16:17], v[108:109]
	s_waitcnt vmcnt(3)
	v_mul_f64 v[186:187], v[4:5], v[118:119]
	s_waitcnt vmcnt(2)
	v_mul_f64 v[8:9], v[2:3], v[122:123]
	v_fma_f64 v[206:207], v[0:1], v[120:121], -v[8:9]
	v_mul_f64 v[208:209], v[0:1], v[122:123]
	v_mul_f64 v[0:1], v[6:7], v[118:119]
	v_fma_f64 v[184:185], v[4:5], v[116:117], -v[0:1]
	v_mul_f64 v[0:1], v[12:13], v[114:115]
	v_fma_f64 v[8:9], v[10:11], v[112:113], -v[0:1]
	v_mul_f64 v[0:1], v[16:17], v[110:111]
	v_mul_f64 v[10:11], v[10:11], v[114:115]
	v_fma_f64 v[180:181], v[14:15], v[108:109], -v[0:1]
	s_waitcnt vmcnt(0) lgkmcnt(8)
	v_mul_f64 v[0:1], v[138:139], v[130:131]
	v_fmac_f64_e32 v[10:11], v[12:13], v[112:113]
	v_fma_f64 v[12:13], v[136:137], v[128:129], -v[0:1]
	s_waitcnt lgkmcnt(7)
	v_mul_f64 v[0:1], v[134:135], v[126:127]
	v_fma_f64 v[16:17], v[132:133], v[124:125], -v[0:1]
	v_lshrrev_b16_e32 v0, 2, v140
	v_and_b32_e32 v0, 63, v0
	v_mul_lo_u16_e32 v23, 37, v0
	v_mul_lo_u16_sdwa v0, v23, v24 dst_sel:DWORD dst_unused:UNUSED_PAD src0_sel:BYTE_1 src1_sel:DWORD
	v_sub_u16_e32 v0, v140, v0
	v_and_b32_e32 v24, 0xff, v0
	v_mul_f64 v[14:15], v[136:137], v[130:131]
	v_mul_f64 v[18:19], v[132:133], v[126:127]
	v_mad_u64_u32 v[0:1], s[26:27], v24, s24, v[188:189]
	v_fmac_f64_e32 v[14:15], v[138:139], v[128:129]
	v_fmac_f64_e32 v[18:19], v[134:135], v[124:125]
	global_load_dwordx4 v[132:135], v[0:1], off offset:464
	global_load_dwordx4 v[136:139], v[0:1], off offset:448
	;; [unrolled: 1-line block ×4, first 2 shown]
	v_fmac_f64_e32 v[208:209], v[2:3], v[120:121]
	v_fmac_f64_e32 v[186:187], v[6:7], v[116:117]
	v_add_f64 v[28:29], v[206:207], v[16:17]
	v_add_f64 v[30:31], v[208:209], v[18:19]
	v_add_f64 v[16:17], v[206:207], -v[16:17]
	v_add_f64 v[18:19], v[208:209], -v[18:19]
	s_waitcnt vmcnt(3) lgkmcnt(2)
	v_mul_f64 v[196:197], v[144:145], v[134:135]
	s_waitcnt vmcnt(2)
	v_mul_f64 v[192:193], v[152:153], v[138:139]
	v_fmac_f64_e32 v[192:193], v[154:155], v[136:137]
	s_waitcnt vmcnt(0)
	v_mul_f64 v[2:3], v[178:179], v[150:151]
	v_fma_f64 v[202:203], v[176:177], v[148:149], -v[2:3]
	v_mul_f64 v[2:3], v[174:175], v[142:143]
	v_fma_f64 v[198:199], v[172:173], v[140:141], -v[2:3]
	;; [unrolled: 2-line block ×4, first 2 shown]
	v_fmac_f64_e32 v[196:197], v[146:147], v[132:133]
	global_load_dwordx4 v[144:147], v[0:1], off offset:496
	global_load_dwordx4 v[152:155], v[0:1], off offset:480
	v_mul_f64 v[200:201], v[172:173], v[142:143]
	v_mul_f64 v[204:205], v[176:177], v[150:151]
	v_fmac_f64_e32 v[200:201], v[174:175], v[140:141]
	v_fmac_f64_e32 v[204:205], v[178:179], v[148:149]
	s_waitcnt lgkmcnt(0)
	s_barrier
	s_waitcnt vmcnt(1)
	v_mul_f64 v[4:5], v[166:167], v[146:147]
	s_waitcnt vmcnt(0)
	v_mul_f64 v[0:1], v[170:171], v[154:155]
	v_fma_f64 v[4:5], v[164:165], v[144:145], -v[4:5]
	v_mul_f64 v[6:7], v[164:165], v[146:147]
	v_add_f64 v[164:165], v[184:185], v[12:13]
	v_fma_f64 v[0:1], v[168:169], v[152:153], -v[0:1]
	v_mul_f64 v[2:3], v[168:169], v[154:155]
	v_fmac_f64_e32 v[6:7], v[166:167], v[144:145]
	v_add_f64 v[166:167], v[186:187], v[14:15]
	v_add_f64 v[168:169], v[8:9], v[180:181]
	;; [unrolled: 1-line block ×3, first 2 shown]
	v_fmac_f64_e32 v[2:3], v[170:171], v[152:153]
	v_add_f64 v[12:13], v[184:185], -v[12:13]
	v_add_f64 v[170:171], v[10:11], v[182:183]
	v_add_f64 v[8:9], v[180:181], -v[8:9]
	v_add_f64 v[174:175], v[166:167], v[30:31]
	v_add_f64 v[176:177], v[164:165], -v[28:29]
	v_add_f64 v[28:29], v[28:29], -v[168:169]
	;; [unrolled: 1-line block ×3, first 2 shown]
	v_add_f64 v[168:169], v[168:169], v[172:173]
	v_add_f64 v[14:15], v[186:187], -v[14:15]
	v_add_f64 v[10:11], v[182:183], -v[10:11]
	;; [unrolled: 1-line block ×5, first 2 shown]
	v_add_f64 v[180:181], v[8:9], v[12:13]
	v_add_f64 v[170:171], v[170:171], v[174:175]
	;; [unrolled: 1-line block ×3, first 2 shown]
	v_add_f64 v[184:185], v[8:9], -v[12:13]
	v_add_f64 v[186:187], v[10:11], -v[14:15]
	v_add_f64 v[206:207], v[16:17], -v[8:9]
	v_add_f64 v[210:211], v[12:13], -v[16:17]
	v_add_f64 v[16:17], v[180:181], v[16:17]
	v_add_f64 v[162:163], v[162:163], v[170:171]
	v_mov_b64_e32 v[180:181], v[160:161]
	v_add_f64 v[182:183], v[10:11], v[14:15]
	v_add_f64 v[208:209], v[18:19], -v[10:11]
	v_add_f64 v[212:213], v[14:15], -v[18:19]
	v_mul_f64 v[28:29], v[28:29], s[6:7]
	v_mul_f64 v[30:31], v[30:31], s[6:7]
	;; [unrolled: 1-line block ×7, first 2 shown]
	v_fmac_f64_e32 v[180:181], s[10:11], v[168:169]
	v_mov_b64_e32 v[168:169], v[162:163]
	v_add_f64 v[18:19], v[182:183], v[18:19]
	v_mul_f64 v[14:15], v[212:213], s[4:5]
	v_fmac_f64_e32 v[168:169], s[10:11], v[170:171]
	v_fma_f64 v[170:171], v[176:177], s[12:13], -v[172:173]
	v_fma_f64 v[172:173], v[178:179], s[12:13], -v[174:175]
	;; [unrolled: 1-line block ×3, first 2 shown]
	v_fmac_f64_e32 v[28:29], s[2:3], v[164:165]
	v_fma_f64 v[164:165], v[178:179], s[16:17], -v[30:31]
	v_fmac_f64_e32 v[30:31], s[2:3], v[166:167]
	v_fma_f64 v[178:179], v[210:211], s[22:23], -v[8:9]
	;; [unrolled: 2-line block ×3, first 2 shown]
	v_fmac_f64_e32 v[12:13], s[18:19], v[206:207]
	v_fmac_f64_e32 v[10:11], s[14:15], v[208:209]
	;; [unrolled: 1-line block ×3, first 2 shown]
	v_add_f64 v[30:31], v[30:31], v[168:169]
	v_add_f64 v[182:183], v[170:171], v[180:181]
	;; [unrolled: 1-line block ×3, first 2 shown]
	v_fmac_f64_e32 v[8:9], s[20:21], v[16:17]
	v_fmac_f64_e32 v[176:177], s[20:21], v[18:19]
	;; [unrolled: 1-line block ×3, first 2 shown]
	v_add_f64 v[28:29], v[28:29], v[180:181]
	v_add_f64 v[184:185], v[172:173], v[168:169]
	;; [unrolled: 1-line block ×3, first 2 shown]
	v_fmac_f64_e32 v[10:11], s[20:21], v[18:19]
	v_fmac_f64_e32 v[178:179], s[20:21], v[16:17]
	;; [unrolled: 1-line block ×3, first 2 shown]
	v_add_f64 v[170:171], v[30:31], -v[8:9]
	v_add_f64 v[166:167], v[186:187], -v[12:13]
	;; [unrolled: 1-line block ×3, first 2 shown]
	v_add_f64 v[176:177], v[176:177], v[182:183]
	v_add_f64 v[182:183], v[12:13], v[186:187]
	v_add_f64 v[186:187], v[8:9], v[30:31]
	v_add_f64 v[8:9], v[202:203], v[4:5]
	v_add_f64 v[12:13], v[198:199], v[0:1]
	v_add_f64 v[168:169], v[10:11], v[28:29]
	v_add_f64 v[164:165], v[14:15], v[180:181]
	v_add_f64 v[174:175], v[178:179], v[184:185]
	v_add_f64 v[178:179], v[184:185], -v[178:179]
	v_add_f64 v[180:181], v[180:181], -v[14:15]
	;; [unrolled: 1-line block ×3, first 2 shown]
	v_add_f64 v[10:11], v[204:205], v[6:7]
	v_add_f64 v[14:15], v[200:201], v[2:3]
	;; [unrolled: 1-line block ×3, first 2 shown]
	v_add_f64 v[28:29], v[194:195], -v[190:191]
	v_add_f64 v[190:191], v[12:13], v[8:9]
	v_add_f64 v[0:1], v[198:199], -v[0:1]
	v_add_f64 v[18:19], v[192:193], v[196:197]
	;; [unrolled: 2-line block ×3, first 2 shown]
	v_add_f64 v[194:195], v[12:13], -v[8:9]
	v_add_f64 v[8:9], v[8:9], -v[16:17]
	;; [unrolled: 1-line block ×3, first 2 shown]
	v_add_f64 v[16:17], v[16:17], v[190:191]
	v_add_f64 v[4:5], v[202:203], -v[4:5]
	v_add_f64 v[2:3], v[200:201], -v[2:3]
	;; [unrolled: 1-line block ×6, first 2 shown]
	v_add_f64 v[18:19], v[18:19], v[192:193]
	v_add_f64 v[156:157], v[156:157], v[16:17]
	v_add_f64 v[6:7], v[204:205], -v[6:7]
	v_add_f64 v[198:199], v[28:29], v[0:1]
	v_add_f64 v[200:201], v[30:31], v[2:3]
	v_add_f64 v[206:207], v[0:1], -v[4:5]
	v_add_f64 v[158:159], v[158:159], v[18:19]
	v_mul_f64 v[0:1], v[202:203], s[8:9]
	v_mov_b64_e32 v[202:203], v[156:157]
	v_add_f64 v[204:205], v[30:31], -v[2:3]
	v_add_f64 v[28:29], v[4:5], -v[28:29]
	;; [unrolled: 1-line block ×3, first 2 shown]
	v_add_f64 v[190:191], v[198:199], v[4:5]
	v_add_f64 v[192:193], v[200:201], v[6:7]
	v_mul_f64 v[8:9], v[8:9], s[6:7]
	v_mul_f64 v[10:11], v[10:11], s[6:7]
	;; [unrolled: 1-line block ×5, first 2 shown]
	v_fmac_f64_e32 v[202:203], s[10:11], v[16:17]
	v_mov_b64_e32 v[16:17], v[158:159]
	v_add_f64 v[30:31], v[6:7], -v[30:31]
	v_mul_f64 v[2:3], v[204:205], s[8:9]
	v_mul_f64 v[6:7], v[208:209], s[4:5]
	v_fmac_f64_e32 v[16:17], s[10:11], v[18:19]
	v_fma_f64 v[18:19], v[194:195], s[12:13], -v[198:199]
	v_fma_f64 v[198:199], v[196:197], s[12:13], -v[200:201]
	;; [unrolled: 1-line block ×3, first 2 shown]
	v_fmac_f64_e32 v[8:9], s[2:3], v[12:13]
	v_fma_f64 v[12:13], v[196:197], s[16:17], -v[10:11]
	v_fmac_f64_e32 v[10:11], s[2:3], v[14:15]
	v_fma_f64 v[196:197], v[206:207], s[22:23], -v[0:1]
	v_fmac_f64_e32 v[0:1], s[14:15], v[28:29]
	v_fmac_f64_e32 v[4:5], s[18:19], v[28:29]
	v_fma_f64 v[200:201], v[208:209], s[22:23], -v[2:3]
	v_fmac_f64_e32 v[2:3], s[14:15], v[30:31]
	v_fmac_f64_e32 v[6:7], s[18:19], v[30:31]
	v_add_f64 v[28:29], v[8:9], v[202:203]
	v_add_f64 v[30:31], v[10:11], v[16:17]
	;; [unrolled: 1-line block ×6, first 2 shown]
	v_fmac_f64_e32 v[0:1], s[20:21], v[190:191]
	v_fmac_f64_e32 v[196:197], s[20:21], v[190:191]
	;; [unrolled: 1-line block ×6, first 2 shown]
	v_add_f64 v[10:11], v[30:31], -v[0:1]
	v_add_f64 v[14:15], v[202:203], -v[4:5]
	v_add_f64 v[18:19], v[196:197], v[198:199]
	v_add_f64 v[192:193], v[198:199], -v[196:197]
	v_add_f64 v[196:197], v[4:5], v[202:203]
	v_add_f64 v[4:5], v[0:1], v[30:31]
	v_mul_u32_u24_sdwa v0, v22, s25 dst_sel:DWORD dst_unused:UNUSED_PAD src0_sel:BYTE_1 src1_sel:DWORD
	v_add_u32_e32 v0, v0, v25
	v_lshl_add_u32 v26, v0, 4, v21
	v_mul_u32_u24_sdwa v0, v23, s25 dst_sel:DWORD dst_unused:UNUSED_PAD src0_sel:BYTE_1 src1_sel:DWORD
	v_add_u32_e32 v0, v0, v24
	v_add_f64 v[8:9], v[2:3], v[28:29]
	v_lshl_add_u32 v21, v0, 4, v21
	v_mad_u64_u32 v[0:1], s[24:25], v240, s24, v[188:189]
	v_add_f64 v[12:13], v[6:7], v[194:195]
	v_add_f64 v[16:17], v[204:205], -v[200:201]
	v_add_f64 v[190:191], v[200:201], v[204:205]
	v_add_f64 v[194:195], v[194:195], -v[6:7]
	v_add_f64 v[2:3], v[28:29], -v[2:3]
	ds_write_b128 v26, v[160:163]
	ds_write_b128 v26, v[168:171] offset:448
	ds_write_b128 v26, v[164:167] offset:896
	;; [unrolled: 1-line block ×6, first 2 shown]
	ds_write_b128 v21, v[156:159]
	ds_write_b128 v21, v[8:11] offset:448
	ds_write_b128 v21, v[12:15] offset:896
	;; [unrolled: 1-line block ×6, first 2 shown]
	s_waitcnt lgkmcnt(0)
	s_barrier
	ds_read_b128 v[208:211], v20
	ds_read_b128 v[4:7], v20 offset:3136
	ds_read_b128 v[8:11], v20 offset:6272
	;; [unrolled: 1-line block ×13, first 2 shown]
	global_load_dwordx4 v[156:159], v[0:1], off offset:3152
	global_load_dwordx4 v[160:163], v[0:1], off offset:3136
	;; [unrolled: 1-line block ×4, first 2 shown]
	s_mov_b64 s[24:25], 0x24c0
	s_waitcnt vmcnt(3) lgkmcnt(9)
	v_mul_f64 v[234:235], v[176:177], v[158:159]
	s_waitcnt vmcnt(2)
	v_mul_f64 v[230:231], v[168:169], v[162:163]
	v_fmac_f64_e32 v[230:231], v[170:171], v[160:161]
	s_waitcnt vmcnt(0)
	v_mul_f64 v[18:19], v[4:5], v[174:175]
	v_mul_f64 v[2:3], v[6:7], v[174:175]
	v_fmac_f64_e32 v[18:19], v[6:7], v[172:173]
	v_mul_f64 v[6:7], v[170:171], v[162:163]
	v_fma_f64 v[228:229], v[168:169], v[160:161], -v[6:7]
	v_mul_f64 v[6:7], v[178:179], v[158:159]
	v_fma_f64 v[232:233], v[176:177], v[156:157], -v[6:7]
	v_fmac_f64_e32 v[234:235], v[178:179], v[156:157]
	global_load_dwordx4 v[168:171], v[0:1], off offset:3184
	global_load_dwordx4 v[176:179], v[0:1], off offset:3168
	v_fma_f64 v[2:3], v[4:5], v[172:173], -v[2:3]
	v_mul_f64 v[4:5], v[10:11], v[166:167]
	v_fma_f64 v[4:5], v[8:9], v[164:165], -v[4:5]
	v_mul_f64 v[14:15], v[8:9], v[166:167]
	v_fmac_f64_e32 v[14:15], v[10:11], v[164:165]
	s_waitcnt vmcnt(1) lgkmcnt(7)
	v_mul_f64 v[28:29], v[180:181], v[170:171]
	s_waitcnt vmcnt(0)
	v_mul_f64 v[6:7], v[186:187], v[178:179]
	v_fma_f64 v[22:23], v[184:185], v[176:177], -v[6:7]
	v_mul_f64 v[6:7], v[182:183], v[170:171]
	v_mul_f64 v[24:25], v[184:185], v[178:179]
	v_fma_f64 v[30:31], v[180:181], v[168:169], -v[6:7]
	v_lshl_add_u64 v[6:7], v[0:1], 0, s[24:25]
	v_fmac_f64_e32 v[24:25], v[186:187], v[176:177]
	v_fmac_f64_e32 v[28:29], v[182:183], v[168:169]
	global_load_dwordx4 v[180:183], v[6:7], off offset:3152
	global_load_dwordx4 v[184:187], v[6:7], off offset:3136
	global_load_dwordx4 v[188:191], v[6:7], off offset:3120
	global_load_dwordx4 v[192:195], v[6:7], off offset:3104
	v_add_f64 v[34:35], v[2:3], v[30:31]
	v_add_f64 v[2:3], v[2:3], -v[30:31]
	v_add_f64 v[30:31], v[14:15], v[24:25]
	v_add_f64 v[14:15], v[14:15], -v[24:25]
	v_add_f64 v[24:25], v[230:231], v[234:235]
	s_mov_b64 s[24:25], 0x55c0
	s_waitcnt vmcnt(2) lgkmcnt(3)
	v_mul_f64 v[246:247], v[200:201], v[186:187]
	v_fmac_f64_e32 v[246:247], v[202:203], v[184:185]
	s_waitcnt vmcnt(0)
	v_mul_f64 v[0:1], v[226:227], v[194:195]
	v_fma_f64 v[252:253], v[224:225], v[192:193], -v[0:1]
	v_mul_f64 v[0:1], v[222:223], v[190:191]
	v_fma_f64 v[248:249], v[220:221], v[188:189], -v[0:1]
	v_mul_f64 v[0:1], v[202:203], v[186:187]
	v_fma_f64 v[244:245], v[200:201], v[184:185], -v[0:1]
	s_waitcnt lgkmcnt(2)
	v_mul_f64 v[0:1], v[198:199], v[182:183]
	v_fma_f64 v[16:17], v[196:197], v[180:181], -v[0:1]
	v_mul_f64 v[0:1], v[196:197], v[182:183]
	v_fmac_f64_e32 v[0:1], v[198:199], v[180:181]
	global_load_dwordx4 v[196:199], v[6:7], off offset:3184
	global_load_dwordx4 v[200:203], v[6:7], off offset:3168
	v_mul_f64 v[250:251], v[220:221], v[190:191]
	v_mul_f64 v[254:255], v[224:225], v[194:195]
	v_fmac_f64_e32 v[250:251], v[222:223], v[188:189]
	v_fmac_f64_e32 v[254:255], v[226:227], v[192:193]
	s_waitcnt vmcnt(1) lgkmcnt(0)
	v_mul_f64 v[8:9], v[214:215], v[198:199]
	s_waitcnt vmcnt(0)
	v_mul_f64 v[6:7], v[218:219], v[202:203]
	v_fma_f64 v[12:13], v[216:217], v[200:201], -v[6:7]
	v_mul_f64 v[6:7], v[216:217], v[202:203]
	v_fma_f64 v[8:9], v[212:213], v[196:197], -v[8:9]
	v_mul_f64 v[10:11], v[212:213], v[198:199]
	v_add_f64 v[212:213], v[18:19], v[28:29]
	v_add_f64 v[18:19], v[18:19], -v[28:29]
	v_add_f64 v[28:29], v[4:5], v[22:23]
	v_fmac_f64_e32 v[6:7], v[218:219], v[200:201]
	v_add_f64 v[4:5], v[4:5], -v[22:23]
	v_add_f64 v[22:23], v[228:229], v[232:233]
	v_add_f64 v[218:219], v[28:29], v[34:35]
	v_fmac_f64_e32 v[10:11], v[214:215], v[196:197]
	v_add_f64 v[214:215], v[232:233], -v[228:229]
	v_add_f64 v[220:221], v[30:31], v[212:213]
	v_add_f64 v[222:223], v[28:29], -v[34:35]
	v_add_f64 v[34:35], v[34:35], -v[22:23]
	;; [unrolled: 1-line block ×3, first 2 shown]
	v_add_f64 v[22:23], v[22:23], v[218:219]
	v_add_f64 v[216:217], v[234:235], -v[230:231]
	v_add_f64 v[224:225], v[30:31], -v[212:213]
	;; [unrolled: 1-line block ×4, first 2 shown]
	v_add_f64 v[226:227], v[214:215], v[4:5]
	v_add_f64 v[24:25], v[24:25], v[220:221]
	;; [unrolled: 1-line block ×4, first 2 shown]
	v_add_f64 v[230:231], v[214:215], -v[4:5]
	v_add_f64 v[232:233], v[216:217], -v[14:15]
	;; [unrolled: 1-line block ×4, first 2 shown]
	v_add_f64 v[38:39], v[226:227], v[2:3]
	v_add_f64 v[210:211], v[210:211], v[24:25]
	v_mov_b64_e32 v[226:227], v[208:209]
	v_add_f64 v[214:215], v[2:3], -v[214:215]
	v_add_f64 v[216:217], v[18:19], -v[216:217]
	v_mul_f64 v[34:35], v[34:35], s[6:7]
	v_mul_f64 v[212:213], v[212:213], s[6:7]
	v_mul_f64 v[218:219], v[28:29], s[2:3]
	v_mul_f64 v[220:221], v[30:31], s[2:3]
	v_mul_f64 v[234:235], v[230:231], s[8:9]
	v_mul_f64 v[232:233], v[232:233], s[8:9]
	v_mul_f64 v[2:3], v[32:33], s[4:5]
	v_mul_f64 v[4:5], v[14:15], s[4:5]
	v_fmac_f64_e32 v[226:227], s[10:11], v[22:23]
	v_mov_b64_e32 v[22:23], v[210:211]
	v_add_f64 v[18:19], v[228:229], v[18:19]
	v_fmac_f64_e32 v[22:23], s[10:11], v[24:25]
	v_fma_f64 v[24:25], v[222:223], s[12:13], -v[218:219]
	v_fma_f64 v[218:219], v[224:225], s[12:13], -v[220:221]
	;; [unrolled: 1-line block ×3, first 2 shown]
	v_fmac_f64_e32 v[34:35], s[2:3], v[28:29]
	v_fma_f64 v[28:29], v[224:225], s[16:17], -v[212:213]
	v_fmac_f64_e32 v[212:213], s[2:3], v[30:31]
	v_fma_f64 v[30:31], v[32:33], s[22:23], -v[234:235]
	v_fma_f64 v[14:15], v[14:15], s[22:23], -v[232:233]
	v_fmac_f64_e32 v[2:3], s[18:19], v[214:215]
	v_fmac_f64_e32 v[4:5], s[18:19], v[216:217]
	v_add_f64 v[32:33], v[34:35], v[226:227]
	v_add_f64 v[34:35], v[212:213], v[22:23]
	;; [unrolled: 1-line block ×6, first 2 shown]
	v_fmac_f64_e32 v[30:31], s[20:21], v[38:39]
	v_fmac_f64_e32 v[14:15], s[20:21], v[18:19]
	;; [unrolled: 1-line block ×6, first 2 shown]
	v_add_f64 v[212:213], v[4:5], v[230:231]
	v_add_f64 v[214:215], v[22:23], -v[2:3]
	v_add_f64 v[220:221], v[24:25], -v[14:15]
	v_add_f64 v[222:223], v[30:31], v[228:229]
	v_add_f64 v[224:225], v[14:15], v[24:25]
	v_add_f64 v[226:227], v[228:229], -v[30:31]
	v_add_f64 v[228:229], v[230:231], -v[4:5]
	v_add_f64 v[230:231], v[2:3], v[22:23]
	v_add_f64 v[2:3], v[252:253], v[8:9]
	;; [unrolled: 1-line block ×3, first 2 shown]
	v_fmac_f64_e32 v[232:233], s[20:21], v[18:19]
	v_add_f64 v[4:5], v[254:255], v[10:11]
	v_add_f64 v[18:19], v[250:251], v[6:7]
	;; [unrolled: 1-line block ×4, first 2 shown]
	v_fmac_f64_e32 v[234:235], s[20:21], v[38:39]
	v_add_f64 v[216:217], v[232:233], v[32:33]
	v_add_f64 v[232:233], v[32:33], -v[232:233]
	v_add_f64 v[12:13], v[248:249], -v[12:13]
	v_add_f64 v[24:25], v[246:247], v[0:1]
	v_add_f64 v[16:17], v[16:17], -v[244:245]
	v_add_f64 v[30:31], v[18:19], v[4:5]
	v_add_f64 v[32:33], v[14:15], -v[2:3]
	v_add_f64 v[2:3], v[2:3], -v[22:23]
	;; [unrolled: 1-line block ×3, first 2 shown]
	v_add_f64 v[22:23], v[22:23], v[28:29]
	v_add_f64 v[218:219], v[34:35], -v[234:235]
	v_add_f64 v[234:235], v[234:235], v[34:35]
	v_add_f64 v[8:9], v[252:253], -v[8:9]
	v_add_f64 v[10:11], v[254:255], -v[10:11]
	v_add_f64 v[6:7], v[250:251], -v[6:7]
	v_add_f64 v[0:1], v[0:1], -v[246:247]
	v_add_f64 v[34:35], v[18:19], -v[4:5]
	v_add_f64 v[4:5], v[4:5], -v[24:25]
	v_add_f64 v[18:19], v[24:25], -v[18:19]
	v_add_f64 v[246:247], v[16:17], -v[12:13]
	v_add_f64 v[24:25], v[24:25], v[30:31]
	v_add_f64 v[204:205], v[204:205], v[22:23]
	;; [unrolled: 1-line block ×4, first 2 shown]
	v_add_f64 v[248:249], v[0:1], -v[6:7]
	v_add_f64 v[250:251], v[10:11], -v[0:1]
	;; [unrolled: 1-line block ×3, first 2 shown]
	v_add_f64 v[206:207], v[206:207], v[24:25]
	v_mul_f64 v[0:1], v[246:247], s[8:9]
	v_mov_b64_e32 v[246:247], v[204:205]
	v_add_f64 v[16:17], v[8:9], -v[16:17]
	v_add_f64 v[252:253], v[6:7], -v[10:11]
	v_add_f64 v[8:9], v[38:39], v[8:9]
	v_add_f64 v[10:11], v[244:245], v[10:11]
	v_mul_f64 v[28:29], v[2:3], s[6:7]
	v_mul_f64 v[30:31], v[4:5], s[6:7]
	;; [unrolled: 1-line block ×5, first 2 shown]
	v_fmac_f64_e32 v[246:247], s[10:11], v[22:23]
	v_mov_b64_e32 v[22:23], v[206:207]
	v_mul_f64 v[2:3], v[248:249], s[8:9]
	v_mul_f64 v[6:7], v[252:253], s[4:5]
	v_fmac_f64_e32 v[22:23], s[10:11], v[24:25]
	v_fma_f64 v[24:25], v[32:33], s[12:13], -v[38:39]
	v_fma_f64 v[38:39], v[34:35], s[12:13], -v[244:245]
	;; [unrolled: 1-line block ×3, first 2 shown]
	v_fmac_f64_e32 v[28:29], s[2:3], v[14:15]
	v_fma_f64 v[14:15], v[34:35], s[16:17], -v[30:31]
	v_fmac_f64_e32 v[30:31], s[2:3], v[18:19]
	v_fma_f64 v[34:35], v[12:13], s[22:23], -v[0:1]
	v_fmac_f64_e32 v[0:1], s[14:15], v[16:17]
	v_fmac_f64_e32 v[4:5], s[18:19], v[16:17]
	v_fma_f64 v[244:245], v[252:253], s[22:23], -v[2:3]
	v_fmac_f64_e32 v[2:3], s[14:15], v[250:251]
	v_fmac_f64_e32 v[6:7], s[18:19], v[250:251]
	v_add_f64 v[30:31], v[30:31], v[22:23]
	v_add_f64 v[38:39], v[38:39], v[22:23]
	;; [unrolled: 1-line block ×3, first 2 shown]
	v_fmac_f64_e32 v[0:1], s[20:21], v[8:9]
	v_fmac_f64_e32 v[4:5], s[20:21], v[8:9]
	v_add_f64 v[28:29], v[28:29], v[246:247]
	v_add_f64 v[24:25], v[24:25], v[246:247]
	;; [unrolled: 1-line block ×3, first 2 shown]
	v_fmac_f64_e32 v[2:3], s[20:21], v[10:11]
	v_fmac_f64_e32 v[34:35], s[20:21], v[8:9]
	;; [unrolled: 1-line block ×4, first 2 shown]
	v_add_f64 v[14:15], v[22:23], -v[4:5]
	v_add_f64 v[250:251], v[4:5], v[22:23]
	v_add_f64 v[4:5], v[0:1], v[30:31]
	s_movk_i32 s9, 0x5000
	v_add_f64 v[8:9], v[2:3], v[28:29]
	v_add_f64 v[10:11], v[30:31], -v[0:1]
	v_add_f64 v[12:13], v[6:7], v[32:33]
	v_add_f64 v[16:17], v[24:25], -v[244:245]
	v_add_f64 v[18:19], v[34:35], v[38:39]
	v_add_f64 v[244:245], v[244:245], v[24:25]
	v_add_f64 v[246:247], v[38:39], -v[34:35]
	v_add_f64 v[248:249], v[32:33], -v[6:7]
	;; [unrolled: 1-line block ×3, first 2 shown]
	ds_write_b128 v20, v[208:211]
	ds_write_b128 v20, v[216:219] offset:3136
	ds_write_b128 v20, v[212:215] offset:6272
	;; [unrolled: 1-line block ×13, first 2 shown]
	v_add_co_u32_e32 v4, vcc, s9, v242
	s_waitcnt lgkmcnt(0)
	s_nop 0
	v_addc_co_u32_e32 v5, vcc, 0, v243, vcc
	s_barrier
	global_load_dwordx4 v[4:7], v[4:5], off offset:1472
	ds_read_b128 v[0:3], v20
	s_mov_b32 s9, 0x8000
	v_add_co_u32_e32 v14, vcc, s9, v242
	v_lshl_add_u64 v[12:13], v[242:243], 0, s[24:25]
	s_nop 0
	v_addc_co_u32_e32 v15, vcc, 0, v243, vcc
	s_movk_i32 s9, 0x6000
	v_accvgpr_read_b32 v28, a52
	s_mov_b32 s21, 0xbfdc38aa
	s_waitcnt vmcnt(0) lgkmcnt(0)
	v_mul_f64 v[8:9], v[2:3], v[6:7]
	v_mul_f64 v[10:11], v[0:1], v[6:7]
	v_fma_f64 v[8:9], v[0:1], v[4:5], -v[8:9]
	v_fmac_f64_e32 v[10:11], v[2:3], v[4:5]
	global_load_dwordx4 v[4:7], v[14:15], off offset:160
	ds_read_b128 v[0:3], v20 offset:10976
	ds_write_b128 v20, v[8:11]
	s_waitcnt vmcnt(0) lgkmcnt(1)
	v_mul_f64 v[8:9], v[2:3], v[6:7]
	v_mul_f64 v[10:11], v[0:1], v[6:7]
	v_fma_f64 v[8:9], v[0:1], v[4:5], -v[8:9]
	v_fmac_f64_e32 v[10:11], v[2:3], v[4:5]
	global_load_dwordx4 v[4:7], v[12:13], off offset:1568
	ds_read_b128 v[0:3], v20 offset:1568
	ds_write_b128 v20, v[8:11] offset:10976
	s_waitcnt vmcnt(0) lgkmcnt(1)
	v_mul_f64 v[8:9], v[2:3], v[6:7]
	v_mul_f64 v[10:11], v[0:1], v[6:7]
	v_fma_f64 v[8:9], v[0:1], v[4:5], -v[8:9]
	v_fmac_f64_e32 v[10:11], v[2:3], v[4:5]
	global_load_dwordx4 v[4:7], v[14:15], off offset:1728
	ds_read_b128 v[0:3], v20 offset:12544
	ds_write_b128 v20, v[8:11] offset:1568
	;; [unrolled: 8-line block ×3, first 2 shown]
	v_add_co_u32_e32 v12, vcc, s9, v242
	s_mov_b32 s9, 0x9000
	s_nop 0
	v_addc_co_u32_e32 v13, vcc, 0, v243, vcc
	s_waitcnt vmcnt(0) lgkmcnt(1)
	v_mul_f64 v[8:9], v[2:3], v[6:7]
	v_mul_f64 v[10:11], v[0:1], v[6:7]
	v_fma_f64 v[8:9], v[0:1], v[4:5], -v[8:9]
	v_fmac_f64_e32 v[10:11], v[2:3], v[4:5]
	global_load_dwordx4 v[4:7], v[14:15], off offset:3296
	ds_read_b128 v[0:3], v20 offset:14112
	ds_write_b128 v20, v[8:11] offset:3136
	v_add_co_u32_e32 v14, vcc, s9, v242
	s_movk_i32 s9, 0x7000
	s_nop 0
	v_addc_co_u32_e32 v15, vcc, 0, v243, vcc
	s_waitcnt vmcnt(0) lgkmcnt(1)
	v_mul_f64 v[8:9], v[2:3], v[6:7]
	v_mul_f64 v[10:11], v[0:1], v[6:7]
	v_fma_f64 v[8:9], v[0:1], v[4:5], -v[8:9]
	v_fmac_f64_e32 v[10:11], v[2:3], v[4:5]
	global_load_dwordx4 v[4:7], v[12:13], off offset:2080
	ds_read_b128 v[0:3], v20 offset:4704
	ds_write_b128 v20, v[8:11] offset:14112
	s_waitcnt vmcnt(0) lgkmcnt(1)
	v_mul_f64 v[8:9], v[2:3], v[6:7]
	v_mul_f64 v[10:11], v[0:1], v[6:7]
	v_fma_f64 v[8:9], v[0:1], v[4:5], -v[8:9]
	v_fmac_f64_e32 v[10:11], v[2:3], v[4:5]
	global_load_dwordx4 v[4:7], v[14:15], off offset:768
	ds_read_b128 v[0:3], v20 offset:15680
	ds_write_b128 v20, v[8:11] offset:4704
	;; [unrolled: 8-line block ×3, first 2 shown]
	v_add_co_u32_e32 v12, vcc, s9, v242
	s_mov_b32 s9, 0xa000
	s_nop 0
	v_addc_co_u32_e32 v13, vcc, 0, v243, vcc
	s_waitcnt vmcnt(0) lgkmcnt(1)
	v_mul_f64 v[8:9], v[2:3], v[6:7]
	v_mul_f64 v[10:11], v[0:1], v[6:7]
	v_fma_f64 v[8:9], v[0:1], v[4:5], -v[8:9]
	v_fmac_f64_e32 v[10:11], v[2:3], v[4:5]
	global_load_dwordx4 v[4:7], v[14:15], off offset:2336
	ds_read_b128 v[0:3], v20 offset:17248
	ds_write_b128 v20, v[8:11] offset:6272
	s_waitcnt vmcnt(0) lgkmcnt(1)
	v_mul_f64 v[8:9], v[2:3], v[6:7]
	v_mul_f64 v[10:11], v[0:1], v[6:7]
	v_fma_f64 v[8:9], v[0:1], v[4:5], -v[8:9]
	v_fmac_f64_e32 v[10:11], v[2:3], v[4:5]
	global_load_dwordx4 v[4:7], v[12:13], off offset:1120
	ds_read_b128 v[0:3], v20 offset:7840
	ds_write_b128 v20, v[8:11] offset:17248
	s_waitcnt vmcnt(0) lgkmcnt(1)
	v_mul_f64 v[8:9], v[2:3], v[6:7]
	v_mul_f64 v[10:11], v[0:1], v[6:7]
	v_fma_f64 v[8:9], v[0:1], v[4:5], -v[8:9]
	v_fmac_f64_e32 v[10:11], v[2:3], v[4:5]
	global_load_dwordx4 v[4:7], v[14:15], off offset:3904
	ds_read_b128 v[0:3], v20 offset:18816
	ds_write_b128 v20, v[8:11] offset:7840
	s_waitcnt vmcnt(0) lgkmcnt(1)
	v_mul_f64 v[8:9], v[2:3], v[6:7]
	v_mul_f64 v[10:11], v[0:1], v[6:7]
	v_fma_f64 v[8:9], v[0:1], v[4:5], -v[8:9]
	v_fmac_f64_e32 v[10:11], v[2:3], v[4:5]
	global_load_dwordx4 v[4:7], v[12:13], off offset:2688
	ds_read_b128 v[0:3], v20 offset:9408
	ds_write_b128 v20, v[8:11] offset:18816
	s_waitcnt vmcnt(0) lgkmcnt(1)
	v_mul_f64 v[8:9], v[2:3], v[6:7]
	v_mul_f64 v[10:11], v[0:1], v[6:7]
	v_fma_f64 v[8:9], v[0:1], v[4:5], -v[8:9]
	v_fmac_f64_e32 v[10:11], v[2:3], v[4:5]
	v_add_co_u32_e32 v4, vcc, s9, v242
	ds_read_b128 v[0:3], v20 offset:20384
	s_nop 0
	v_addc_co_u32_e32 v5, vcc, 0, v243, vcc
	global_load_dwordx4 v[4:7], v[4:5], off offset:1376
	ds_write_b128 v20, v[8:11] offset:9408
	s_mov_b32 s9, 0x3fe11646
	s_waitcnt vmcnt(0) lgkmcnt(1)
	v_mul_f64 v[8:9], v[2:3], v[6:7]
	v_mul_f64 v[10:11], v[0:1], v[6:7]
	v_fma_f64 v[8:9], v[0:1], v[4:5], -v[8:9]
	v_fmac_f64_e32 v[10:11], v[2:3], v[4:5]
	ds_write_b128 v20, v[8:11] offset:20384
	s_waitcnt lgkmcnt(0)
	s_barrier
	ds_read_b128 v[0:3], v20
	ds_read_b128 v[4:7], v20 offset:10976
	ds_read_b128 v[8:11], v20 offset:1568
	;; [unrolled: 1-line block ×13, first 2 shown]
	s_waitcnt lgkmcnt(12)
	v_add_f64 v[4:5], v[0:1], -v[4:5]
	v_add_f64 v[6:7], v[2:3], -v[6:7]
	v_fma_f64 v[0:1], v[0:1], 2.0, -v[4:5]
	v_fma_f64 v[2:3], v[2:3], 2.0, -v[6:7]
	s_waitcnt lgkmcnt(10)
	v_add_f64 v[12:13], v[8:9], -v[12:13]
	v_add_f64 v[14:15], v[10:11], -v[14:15]
	v_fma_f64 v[8:9], v[8:9], 2.0, -v[12:13]
	v_fma_f64 v[10:11], v[10:11], 2.0, -v[14:15]
	s_waitcnt lgkmcnt(8)
	v_add_f64 v[250:251], v[16:17], -v[204:205]
	v_add_f64 v[252:253], v[18:19], -v[206:207]
	s_waitcnt lgkmcnt(0)
	s_barrier
	ds_write_b128 v28, v[0:3]
	ds_write_b128 v28, v[4:7] offset:16
	v_accvgpr_read_b32 v0, a51
	v_fma_f64 v[16:17], v[16:17], 2.0, -v[250:251]
	v_fma_f64 v[18:19], v[18:19], 2.0, -v[252:253]
	v_add_f64 v[204:205], v[208:209], -v[212:213]
	v_add_f64 v[206:207], v[210:211], -v[214:215]
	ds_write_b128 v0, v[8:11]
	ds_write_b128 v0, v[12:15] offset:16
	v_accvgpr_read_b32 v0, a50
	v_fma_f64 v[22:23], v[208:209], 2.0, -v[204:205]
	v_fma_f64 v[24:25], v[210:211], 2.0, -v[206:207]
	v_add_f64 v[220:221], v[216:217], -v[220:221]
	v_add_f64 v[222:223], v[218:219], -v[222:223]
	;; [unrolled: 7-line block ×4, first 2 shown]
	ds_write_b128 v0, v[224:227]
	ds_write_b128 v0, v[220:223] offset:16
	v_accvgpr_read_b32 v0, a47
	v_fma_f64 v[208:209], v[242:243], 2.0, -v[228:229]
	v_fma_f64 v[210:211], v[244:245], 2.0, -v[230:231]
	ds_write_b128 v0, v[216:219]
	ds_write_b128 v0, v[212:215] offset:16
	v_accvgpr_read_b32 v0, a46
	ds_write_b128 v0, v[208:211]
	ds_write_b128 v0, v[228:231] offset:16
	s_waitcnt lgkmcnt(0)
	s_barrier
	ds_read_b128 v[0:3], v20
	ds_read_b128 v[4:7], v20 offset:10976
	ds_read_b128 v[8:11], v20 offset:1568
	ds_read_b128 v[12:15], v20 offset:12544
	ds_read_b128 v[16:19], v20 offset:3136
	ds_read_b128 v[22:25], v20 offset:14112
	ds_read_b128 v[204:207], v20 offset:4704
	ds_read_b128 v[208:211], v20 offset:15680
	ds_read_b128 v[212:215], v20 offset:6272
	ds_read_b128 v[216:219], v20 offset:17248
	ds_read_b128 v[228:231], v20 offset:7840
	ds_read_b128 v[220:223], v20 offset:18816
	ds_read_b128 v[232:235], v20 offset:9408
	ds_read_b128 v[224:227], v20 offset:20384
	s_waitcnt lgkmcnt(12)
	v_mul_f64 v[28:29], v[78:79], v[6:7]
	v_fmac_f64_e32 v[28:29], v[76:77], v[4:5]
	v_mul_f64 v[4:5], v[78:79], v[4:5]
	v_fma_f64 v[6:7], v[76:77], v[6:7], -v[4:5]
	s_waitcnt lgkmcnt(10)
	v_mul_f64 v[4:5], v[78:79], v[12:13]
	v_mul_f64 v[30:31], v[78:79], v[14:15]
	v_fma_f64 v[14:15], v[76:77], v[14:15], -v[4:5]
	s_waitcnt lgkmcnt(8)
	v_mul_f64 v[4:5], v[78:79], v[22:23]
	;; [unrolled: 4-line block ×3, first 2 shown]
	v_fma_f64 v[38:39], v[76:77], v[210:211], -v[4:5]
	s_waitcnt lgkmcnt(4)
	v_mul_f64 v[4:5], v[78:79], v[216:217]
	v_mul_f64 v[34:35], v[78:79], v[210:211]
	v_fma_f64 v[210:211], v[76:77], v[218:219], -v[4:5]
	s_waitcnt lgkmcnt(2)
	v_mul_f64 v[4:5], v[78:79], v[220:221]
	v_fma_f64 v[248:249], v[76:77], v[222:223], -v[4:5]
	s_waitcnt lgkmcnt(0)
	v_mul_f64 v[4:5], v[78:79], v[224:225]
	v_fmac_f64_e32 v[30:31], v[76:77], v[12:13]
	v_fmac_f64_e32 v[34:35], v[76:77], v[208:209]
	v_mul_f64 v[208:209], v[78:79], v[218:219]
	v_mul_f64 v[246:247], v[78:79], v[222:223]
	;; [unrolled: 1-line block ×3, first 2 shown]
	v_fma_f64 v[78:79], v[76:77], v[226:227], -v[4:5]
	v_add_f64 v[4:5], v[0:1], -v[28:29]
	v_add_f64 v[6:7], v[2:3], -v[6:7]
	v_fmac_f64_e32 v[32:33], v[76:77], v[22:23]
	v_fma_f64 v[0:1], v[0:1], 2.0, -v[4:5]
	v_fma_f64 v[2:3], v[2:3], 2.0, -v[6:7]
	v_add_f64 v[12:13], v[8:9], -v[30:31]
	v_add_f64 v[14:15], v[10:11], -v[14:15]
	v_accvgpr_read_b32 v28, a45
	v_fma_f64 v[8:9], v[8:9], 2.0, -v[12:13]
	v_fma_f64 v[10:11], v[10:11], 2.0, -v[14:15]
	v_add_f64 v[22:23], v[16:17], -v[32:33]
	v_add_f64 v[24:25], v[18:19], -v[24:25]
	s_barrier
	ds_write_b128 v28, v[0:3]
	ds_write_b128 v28, v[4:7] offset:32
	v_accvgpr_read_b32 v0, a44
	v_fmac_f64_e32 v[208:209], v[76:77], v[216:217]
	v_fmac_f64_e32 v[250:251], v[76:77], v[224:225]
	v_fma_f64 v[16:17], v[16:17], 2.0, -v[22:23]
	v_fma_f64 v[18:19], v[18:19], 2.0, -v[24:25]
	v_add_f64 v[224:225], v[204:205], -v[34:35]
	v_add_f64 v[226:227], v[206:207], -v[38:39]
	ds_write_b128 v0, v[8:11]
	ds_write_b128 v0, v[12:15] offset:32
	v_accvgpr_read_b32 v0, a43
	v_fmac_f64_e32 v[246:247], v[76:77], v[220:221]
	v_fma_f64 v[242:243], v[204:205], 2.0, -v[224:225]
	v_fma_f64 v[244:245], v[206:207], 2.0, -v[226:227]
	v_add_f64 v[216:217], v[212:213], -v[208:209]
	v_add_f64 v[218:219], v[214:215], -v[210:211]
	ds_write_b128 v0, v[16:19]
	ds_write_b128 v0, v[22:25] offset:32
	v_accvgpr_read_b32 v0, a42
	v_fma_f64 v[220:221], v[212:213], 2.0, -v[216:217]
	v_fma_f64 v[222:223], v[214:215], 2.0, -v[218:219]
	v_add_f64 v[208:209], v[228:229], -v[246:247]
	v_add_f64 v[210:211], v[230:231], -v[248:249]
	;; [unrolled: 1-line block ×4, first 2 shown]
	ds_write_b128 v0, v[242:245]
	ds_write_b128 v0, v[224:227] offset:32
	v_accvgpr_read_b32 v0, a41
	v_fma_f64 v[212:213], v[228:229], 2.0, -v[208:209]
	v_fma_f64 v[214:215], v[230:231], 2.0, -v[210:211]
	;; [unrolled: 1-line block ×4, first 2 shown]
	ds_write_b128 v0, v[220:223]
	ds_write_b128 v0, v[216:219] offset:32
	v_accvgpr_read_b32 v0, a40
	ds_write_b128 v0, v[212:215]
	ds_write_b128 v0, v[208:211] offset:32
	ds_write_b128 v37, v[204:207]
	ds_write_b128 v37, v[76:79] offset:32
	s_waitcnt lgkmcnt(0)
	s_barrier
	ds_read_b128 v[204:207], v20
	ds_read_b128 v[0:3], v20 offset:3136
	ds_read_b128 v[4:7], v20 offset:6272
	;; [unrolled: 1-line block ×13, first 2 shown]
	s_waitcnt lgkmcnt(12)
	v_mul_f64 v[28:29], v[74:75], v[2:3]
	v_fmac_f64_e32 v[28:29], v[72:73], v[0:1]
	v_mul_f64 v[0:1], v[74:75], v[0:1]
	v_fma_f64 v[30:31], v[72:73], v[2:3], -v[0:1]
	s_waitcnt lgkmcnt(11)
	v_mul_f64 v[0:1], v[66:67], v[4:5]
	v_fma_f64 v[34:35], v[64:65], v[6:7], -v[0:1]
	s_waitcnt lgkmcnt(10)
	v_mul_f64 v[38:39], v[62:63], v[10:11]
	v_mul_f64 v[0:1], v[62:63], v[8:9]
	v_fmac_f64_e32 v[38:39], v[60:61], v[8:9]
	v_fma_f64 v[60:61], v[60:61], v[10:11], -v[0:1]
	s_waitcnt lgkmcnt(9)
	v_mul_f64 v[62:63], v[58:59], v[14:15]
	v_mul_f64 v[0:1], v[58:59], v[12:13]
	;; [unrolled: 1-line block ×3, first 2 shown]
	v_fmac_f64_e32 v[62:63], v[56:57], v[12:13]
	v_fma_f64 v[56:57], v[56:57], v[14:15], -v[0:1]
	s_waitcnt lgkmcnt(8)
	v_mul_f64 v[0:1], v[82:83], v[16:17]
	v_fmac_f64_e32 v[32:33], v[64:65], v[4:5]
	v_mul_f64 v[58:59], v[82:83], v[18:19]
	v_fma_f64 v[18:19], v[80:81], v[18:19], -v[0:1]
	s_waitcnt lgkmcnt(7)
	v_mul_f64 v[64:65], v[70:71], v[24:25]
	v_mul_f64 v[0:1], v[70:71], v[22:23]
	v_fmac_f64_e32 v[64:65], v[68:69], v[22:23]
	v_fma_f64 v[22:23], v[68:69], v[24:25], -v[0:1]
	s_waitcnt lgkmcnt(4)
	v_mul_f64 v[6:7], v[94:95], v[212:213]
	s_waitcnt lgkmcnt(1)
	v_mul_f64 v[24:25], v[106:107], v[224:225]
	v_fmac_f64_e32 v[58:59], v[80:81], v[16:17]
	v_fma_f64 v[8:9], v[92:93], v[214:215], -v[6:7]
	v_mul_f64 v[6:7], v[90:91], v[218:219]
	v_mul_f64 v[10:11], v[90:91], v[216:217]
	v_fma_f64 v[72:73], v[104:105], v[226:227], -v[24:25]
	s_waitcnt lgkmcnt(0)
	v_mul_f64 v[24:25], v[98:99], v[228:229]
	v_fmac_f64_e32 v[6:7], v[88:89], v[216:217]
	v_fma_f64 v[10:11], v[88:89], v[218:219], -v[10:11]
	v_fma_f64 v[88:89], v[96:97], v[230:231], -v[24:25]
	v_add_f64 v[24:25], v[28:29], v[64:65]
	v_add_f64 v[66:67], v[30:31], v[22:23]
	v_add_f64 v[22:23], v[30:31], -v[22:23]
	v_add_f64 v[30:31], v[32:33], v[58:59]
	v_add_f64 v[28:29], v[28:29], -v[64:65]
	;; [unrolled: 2-line block ×3, first 2 shown]
	v_add_f64 v[18:19], v[34:35], -v[18:19]
	v_add_f64 v[34:35], v[38:39], v[62:63]
	v_add_f64 v[58:59], v[60:61], v[56:57]
	v_add_f64 v[56:57], v[56:57], -v[60:61]
	v_add_f64 v[60:61], v[30:31], v[24:25]
	v_add_f64 v[38:39], v[62:63], -v[38:39]
	;; [unrolled: 2-line block ×3, first 2 shown]
	v_add_f64 v[24:25], v[24:25], -v[34:35]
	v_add_f64 v[30:31], v[34:35], -v[30:31]
	v_add_f64 v[34:35], v[34:35], v[60:61]
	v_mul_f64 v[12:13], v[86:87], v[222:223]
	v_mul_f64 v[14:15], v[86:87], v[220:221]
	v_add_f64 v[82:83], v[56:57], v[18:19]
	v_add_f64 v[86:87], v[56:57], -v[18:19]
	v_add_f64 v[90:91], v[22:23], -v[56:57]
	v_add_f64 v[60:61], v[58:59], v[62:63]
	v_add_f64 v[56:57], v[204:205], v[34:35]
	v_mul_f64 v[2:3], v[102:103], v[208:209]
	v_fmac_f64_e32 v[12:13], v[84:85], v[220:221]
	v_fma_f64 v[14:15], v[84:85], v[222:223], -v[14:15]
	v_mul_f64 v[74:75], v[98:99], v[230:231]
	v_add_f64 v[70:71], v[64:65], -v[66:67]
	v_add_f64 v[66:67], v[66:67], -v[58:59]
	;; [unrolled: 1-line block ×3, first 2 shown]
	v_add_f64 v[80:81], v[38:39], v[32:33]
	v_add_f64 v[84:85], v[38:39], -v[32:33]
	v_add_f64 v[32:33], v[32:33], -v[28:29]
	v_add_f64 v[18:19], v[18:19], -v[22:23]
	v_add_f64 v[22:23], v[82:83], v[22:23]
	v_add_f64 v[58:59], v[206:207], v[60:61]
	v_mov_b64_e32 v[82:83], v[56:57]
	v_fma_f64 v[4:5], v[100:101], v[210:211], -v[2:3]
	v_mul_f64 v[2:3], v[94:95], v[214:215]
	v_fmac_f64_e32 v[74:75], v[96:97], v[228:229]
	v_add_f64 v[38:39], v[28:29], -v[38:39]
	v_mul_f64 v[24:25], v[24:25], s[6:7]
	v_mul_f64 v[62:63], v[66:67], s[6:7]
	;; [unrolled: 1-line block ×5, first 2 shown]
	v_fmac_f64_e32 v[82:83], s[10:11], v[34:35]
	v_mov_b64_e32 v[34:35], v[58:59]
	v_mul_f64 v[0:1], v[102:103], v[210:211]
	v_fmac_f64_e32 v[2:3], v[92:93], v[212:213]
	v_mul_f64 v[16:17], v[106:107], v[226:227]
	v_add_f64 v[28:29], v[80:81], v[28:29]
	v_mul_f64 v[80:81], v[64:65], s[2:3]
	v_mul_f64 v[92:93], v[84:85], s[8:9]
	;; [unrolled: 1-line block ×3, first 2 shown]
	v_fmac_f64_e32 v[34:35], s[10:11], v[60:61]
	v_fma_f64 v[60:61], v[68:69], s[12:13], -v[66:67]
	v_fma_f64 v[68:69], v[68:69], s[16:17], -v[24:25]
	v_fmac_f64_e32 v[24:25], s[2:3], v[30:31]
	v_fma_f64 v[30:31], v[70:71], s[16:17], -v[62:63]
	v_fma_f64 v[18:19], v[18:19], s[4:5], -v[94:95]
	v_fmac_f64_e32 v[96:97], s[14:15], v[38:39]
	v_fmac_f64_e32 v[0:1], v[100:101], v[208:209]
	;; [unrolled: 1-line block ×3, first 2 shown]
	v_fma_f64 v[66:67], v[70:71], s[12:13], -v[80:81]
	v_fmac_f64_e32 v[62:63], s[2:3], v[64:65]
	v_fma_f64 v[32:33], v[32:33], s[4:5], -v[92:93]
	v_add_f64 v[60:61], v[60:61], v[82:83]
	v_add_f64 v[30:31], v[30:31], v[34:35]
	v_fmac_f64_e32 v[18:19], s[20:21], v[22:23]
	v_fmac_f64_e32 v[96:97], s[20:21], v[28:29]
	;; [unrolled: 1-line block ×3, first 2 shown]
	v_add_f64 v[38:39], v[62:63], v[34:35]
	v_add_f64 v[62:63], v[66:67], v[34:35]
	v_fmac_f64_e32 v[32:33], s[20:21], v[28:29]
	v_add_f64 v[66:67], v[30:31], -v[96:97]
	v_add_f64 v[80:81], v[60:61], -v[18:19]
	v_add_f64 v[84:85], v[18:19], v[60:61]
	v_add_f64 v[106:107], v[96:97], v[30:31]
	;; [unrolled: 1-line block ×4, first 2 shown]
	v_fmac_f64_e32 v[94:95], s[18:19], v[90:91]
	v_fmac_f64_e32 v[98:99], s[14:15], v[90:91]
	v_add_f64 v[24:25], v[24:25], v[82:83]
	v_add_f64 v[90:91], v[68:69], v[82:83]
	v_fmac_f64_e32 v[92:93], s[20:21], v[28:29]
	v_add_f64 v[82:83], v[32:33], v[62:63]
	v_add_f64 v[86:87], v[62:63], -v[32:33]
	v_add_f64 v[28:29], v[4:5], v[88:89]
	v_add_f64 v[32:33], v[8:9], v[72:73]
	v_add_f64 v[2:3], v[2:3], -v[16:17]
	v_add_f64 v[16:17], v[6:7], v[12:13]
	v_add_f64 v[6:7], v[12:13], -v[6:7]
	;; [unrolled: 2-line block ×3, first 2 shown]
	v_add_f64 v[8:9], v[8:9], -v[72:73]
	v_add_f64 v[34:35], v[10:11], v[14:15]
	v_add_f64 v[10:11], v[14:15], -v[10:11]
	v_add_f64 v[14:15], v[32:33], v[28:29]
	v_add_f64 v[60:61], v[6:7], v[2:3]
	;; [unrolled: 1-line block ×3, first 2 shown]
	v_fmac_f64_e32 v[94:95], s[20:21], v[22:23]
	v_add_f64 v[4:5], v[4:5], -v[88:89]
	v_add_f64 v[62:63], v[10:11], v[8:9]
	v_add_f64 v[74:75], v[6:7], -v[2:3]
	v_add_f64 v[88:89], v[10:11], -v[8:9]
	;; [unrolled: 1-line block ×4, first 2 shown]
	v_add_f64 v[14:15], v[34:35], v[14:15]
	v_add_f64 v[0:1], v[60:61], v[0:1]
	;; [unrolled: 1-line block ×3, first 2 shown]
	v_fmac_f64_e32 v[98:99], s[20:21], v[22:23]
	v_add_f64 v[68:69], v[94:95], v[24:25]
	v_add_f64 v[70:71], v[38:39], -v[92:93]
	v_add_f64 v[22:23], v[24:25], -v[94:95]
	v_add_f64 v[24:25], v[92:93], v[38:39]
	v_add_f64 v[38:39], v[30:31], -v[18:19]
	v_add_f64 v[72:73], v[32:33], -v[28:29]
	;; [unrolled: 1-line block ×8, first 2 shown]
	v_add_f64 v[4:5], v[62:63], v[4:5]
	v_add_f64 v[62:63], v[78:79], v[14:15]
	v_mul_f64 v[204:205], v[88:89], s[8:9]
	v_mov_b64_e32 v[88:89], v[60:61]
	v_mul_f64 v[16:17], v[18:19], s[6:7]
	v_mul_f64 v[18:19], v[28:29], s[6:7]
	;; [unrolled: 1-line block ×7, first 2 shown]
	v_fmac_f64_e32 v[88:89], s[10:11], v[12:13]
	v_mov_b64_e32 v[12:13], v[62:63]
	v_fmac_f64_e32 v[12:13], s[10:11], v[14:15]
	v_fma_f64 v[14:15], v[38:39], s[12:13], -v[28:29]
	v_fma_f64 v[28:29], v[72:73], s[12:13], -v[34:35]
	;; [unrolled: 1-line block ×3, first 2 shown]
	v_fmac_f64_e32 v[16:17], s[2:3], v[30:31]
	v_fma_f64 v[30:31], v[72:73], s[16:17], -v[18:19]
	v_fmac_f64_e32 v[18:19], s[2:3], v[32:33]
	v_fma_f64 v[2:3], v[2:3], s[4:5], -v[74:75]
	;; [unrolled: 2-line block ×3, first 2 shown]
	v_fmac_f64_e32 v[204:205], s[18:19], v[10:11]
	v_fmac_f64_e32 v[78:79], s[14:15], v[6:7]
	;; [unrolled: 1-line block ×3, first 2 shown]
	v_add_f64 v[6:7], v[16:17], v[88:89]
	v_add_f64 v[10:11], v[18:19], v[12:13]
	;; [unrolled: 1-line block ×5, first 2 shown]
	v_fmac_f64_e32 v[74:75], s[20:21], v[0:1]
	v_fmac_f64_e32 v[204:205], s[20:21], v[4:5]
	;; [unrolled: 1-line block ×4, first 2 shown]
	v_add_f64 v[64:65], v[98:99], v[90:91]
	v_add_f64 v[104:105], v[90:91], -v[98:99]
	v_add_f64 v[14:15], v[14:15], v[88:89]
	v_fmac_f64_e32 v[2:3], s[20:21], v[0:1]
	v_fmac_f64_e32 v[8:9], s[20:21], v[4:5]
	v_add_f64 v[102:103], v[10:11], -v[74:75]
	v_add_f64 v[96:97], v[76:77], v[18:19]
	v_add_f64 v[98:99], v[12:13], -v[78:79]
	v_add_f64 v[76:77], v[18:19], -v[76:77]
	v_add_f64 v[78:79], v[78:79], v[12:13]
	v_add_f64 v[72:73], v[6:7], -v[204:205]
	v_add_f64 v[74:75], v[74:75], v[10:11]
	v_add_f64 v[100:101], v[204:205], v[6:7]
	v_add_f64 v[92:93], v[14:15], -v[8:9]
	v_add_f64 v[94:95], v[2:3], v[16:17]
	v_add_f64 v[88:89], v[8:9], v[14:15]
	v_add_f64 v[90:91], v[16:17], -v[2:3]
	s_barrier
	ds_write_b128 v27, v[56:59]
	ds_write_b128 v27, v[68:71] offset:64
	ds_write_b128 v27, v[64:67] offset:128
	;; [unrolled: 1-line block ×6, first 2 shown]
	ds_write_b128 v36, v[60:63]
	ds_write_b128 v36, v[100:103] offset:64
	ds_write_b128 v36, v[96:99] offset:128
	ds_write_b128 v36, v[92:95] offset:192
	ds_write_b128 v36, v[88:91] offset:256
	ds_write_b128 v36, v[76:79] offset:320
	ds_write_b128 v36, v[72:75] offset:384
	s_waitcnt lgkmcnt(0)
	s_barrier
	ds_read_b128 v[60:63], v20
	ds_read_b128 v[0:3], v20 offset:3136
	ds_read_b128 v[4:7], v20 offset:6272
	ds_read_b128 v[8:11], v20 offset:9408
	ds_read_b128 v[12:15], v20 offset:12544
	ds_read_b128 v[16:19], v20 offset:15680
	ds_read_b128 v[22:25], v20 offset:18816
	ds_read_b128 v[56:59], v20 offset:1568
	ds_read_b128 v[64:67], v20 offset:4704
	ds_read_b128 v[68:71], v20 offset:7840
	ds_read_b128 v[72:75], v20 offset:10976
	ds_read_b128 v[76:79], v20 offset:14112
	ds_read_b128 v[80:83], v20 offset:17248
	ds_read_b128 v[84:87], v20 offset:20384
	s_waitcnt lgkmcnt(12)
	v_mul_f64 v[28:29], v[122:123], v[2:3]
	v_fmac_f64_e32 v[28:29], v[120:121], v[0:1]
	v_mul_f64 v[0:1], v[122:123], v[0:1]
	v_fma_f64 v[30:31], v[120:121], v[2:3], -v[0:1]
	s_waitcnt lgkmcnt(11)
	v_mul_f64 v[0:1], v[118:119], v[4:5]
	v_fma_f64 v[34:35], v[116:117], v[6:7], -v[0:1]
	s_waitcnt lgkmcnt(10)
	;; [unrolled: 3-line block ×4, first 2 shown]
	v_mul_f64 v[92:93], v[130:131], v[18:19]
	v_mul_f64 v[0:1], v[130:131], v[16:17]
	;; [unrolled: 1-line block ×3, first 2 shown]
	v_fmac_f64_e32 v[92:93], v[128:129], v[16:17]
	v_fma_f64 v[16:17], v[128:129], v[18:19], -v[0:1]
	s_waitcnt lgkmcnt(7)
	v_mul_f64 v[18:19], v[126:127], v[24:25]
	v_mul_f64 v[0:1], v[126:127], v[22:23]
	s_waitcnt lgkmcnt(5)
	v_mul_f64 v[6:7], v[150:151], v[66:67]
	v_fmac_f64_e32 v[18:19], v[124:125], v[22:23]
	v_fma_f64 v[22:23], v[124:125], v[24:25], -v[0:1]
	v_fmac_f64_e32 v[6:7], v[148:149], v[64:65]
	v_mul_f64 v[0:1], v[150:151], v[64:65]
	s_waitcnt lgkmcnt(1)
	v_mul_f64 v[64:65], v[154:155], v[80:81]
	v_fmac_f64_e32 v[32:33], v[116:117], v[4:5]
	v_mul_f64 v[36:37], v[114:115], v[10:11]
	v_mul_f64 v[88:89], v[110:111], v[14:15]
	v_fma_f64 v[94:95], v[152:153], v[82:83], -v[64:65]
	s_waitcnt lgkmcnt(0)
	v_mul_f64 v[64:65], v[146:147], v[84:85]
	v_fmac_f64_e32 v[36:37], v[112:113], v[8:9]
	v_fmac_f64_e32 v[88:89], v[108:109], v[12:13]
	v_fma_f64 v[12:13], v[148:149], v[66:67], -v[0:1]
	v_mul_f64 v[0:1], v[142:143], v[68:69]
	v_fma_f64 v[98:99], v[144:145], v[86:87], -v[64:65]
	v_add_f64 v[64:65], v[28:29], v[18:19]
	v_add_f64 v[18:19], v[28:29], -v[18:19]
	v_add_f64 v[28:29], v[32:33], v[92:93]
	v_mul_f64 v[2:3], v[142:143], v[70:71]
	v_fma_f64 v[8:9], v[140:141], v[70:71], -v[0:1]
	v_mul_f64 v[0:1], v[138:139], v[74:75]
	v_mul_f64 v[4:5], v[138:139], v[72:73]
	v_add_f64 v[66:67], v[30:31], v[22:23]
	v_add_f64 v[22:23], v[30:31], -v[22:23]
	v_add_f64 v[30:31], v[34:35], v[16:17]
	v_add_f64 v[16:17], v[34:35], -v[16:17]
	v_add_f64 v[34:35], v[36:37], v[88:89]
	v_add_f64 v[70:71], v[28:29], v[64:65]
	v_fmac_f64_e32 v[2:3], v[140:141], v[68:69]
	v_fmac_f64_e32 v[0:1], v[136:137], v[72:73]
	v_fma_f64 v[4:5], v[136:137], v[74:75], -v[4:5]
	v_mul_f64 v[10:11], v[134:135], v[78:79]
	v_mul_f64 v[14:15], v[134:135], v[76:77]
	v_add_f64 v[32:33], v[32:33], -v[92:93]
	v_add_f64 v[68:69], v[38:39], v[90:91]
	v_add_f64 v[36:37], v[88:89], -v[36:37]
	v_add_f64 v[72:73], v[30:31], v[66:67]
	v_add_f64 v[74:75], v[28:29], -v[64:65]
	v_add_f64 v[64:65], v[64:65], -v[34:35]
	;; [unrolled: 1-line block ×3, first 2 shown]
	v_add_f64 v[34:35], v[34:35], v[70:71]
	v_fmac_f64_e32 v[10:11], v[132:133], v[76:77]
	v_fma_f64 v[14:15], v[132:133], v[78:79], -v[14:15]
	v_mul_f64 v[96:97], v[146:147], v[86:87]
	v_add_f64 v[38:39], v[90:91], -v[38:39]
	v_add_f64 v[76:77], v[30:31], -v[66:67]
	;; [unrolled: 1-line block ×4, first 2 shown]
	v_add_f64 v[78:79], v[36:37], v[32:33]
	v_add_f64 v[68:69], v[68:69], v[72:73]
	;; [unrolled: 1-line block ×3, first 2 shown]
	v_mul_f64 v[24:25], v[154:155], v[82:83]
	v_fmac_f64_e32 v[96:97], v[144:145], v[84:85]
	v_add_f64 v[82:83], v[36:37], -v[32:33]
	v_add_f64 v[84:85], v[38:39], -v[16:17]
	v_add_f64 v[36:37], v[18:19], -v[36:37]
	v_add_f64 v[32:33], v[32:33], -v[18:19]
	v_add_f64 v[18:19], v[78:79], v[18:19]
	v_add_f64 v[62:63], v[62:63], v[68:69]
	v_mov_b64_e32 v[78:79], v[60:61]
	v_fmac_f64_e32 v[24:25], v[152:153], v[80:81]
	v_add_f64 v[80:81], v[38:39], v[16:17]
	v_add_f64 v[16:17], v[16:17], -v[22:23]
	v_mul_f64 v[70:71], v[28:29], s[2:3]
	v_mul_f64 v[84:85], v[84:85], s[8:9]
	v_fmac_f64_e32 v[78:79], s[10:11], v[34:35]
	v_mov_b64_e32 v[34:35], v[62:63]
	v_add_f64 v[38:39], v[22:23], -v[38:39]
	v_add_f64 v[22:23], v[80:81], v[22:23]
	v_mul_f64 v[64:65], v[64:65], s[6:7]
	v_mul_f64 v[66:67], v[66:67], s[6:7]
	;; [unrolled: 1-line block ×6, first 2 shown]
	v_fmac_f64_e32 v[34:35], s[10:11], v[68:69]
	v_fma_f64 v[68:69], v[74:75], s[12:13], -v[70:71]
	v_fma_f64 v[16:17], v[16:17], s[4:5], -v[84:85]
	;; [unrolled: 1-line block ×4, first 2 shown]
	v_fmac_f64_e32 v[64:65], s[2:3], v[28:29]
	v_fma_f64 v[28:29], v[76:77], s[16:17], -v[66:67]
	v_fmac_f64_e32 v[84:85], s[18:19], v[38:39]
	v_fmac_f64_e32 v[82:83], s[14:15], v[36:37]
	;; [unrolled: 1-line block ×3, first 2 shown]
	v_add_f64 v[38:39], v[68:69], v[78:79]
	v_fmac_f64_e32 v[16:17], s[20:21], v[22:23]
	v_fmac_f64_e32 v[66:67], s[2:3], v[30:31]
	v_fma_f64 v[30:31], v[32:33], s[4:5], -v[86:87]
	v_fmac_f64_e32 v[86:87], s[18:19], v[36:37]
	v_add_f64 v[90:91], v[72:73], v[78:79]
	v_add_f64 v[28:29], v[28:29], v[34:35]
	v_fmac_f64_e32 v[84:85], s[20:21], v[22:23]
	v_fmac_f64_e32 v[82:83], s[20:21], v[18:19]
	;; [unrolled: 1-line block ×3, first 2 shown]
	v_add_f64 v[72:73], v[38:39], -v[16:17]
	v_add_f64 v[76:77], v[16:17], v[38:39]
	v_add_f64 v[16:17], v[6:7], v[96:97]
	;; [unrolled: 1-line block ×5, first 2 shown]
	v_fmac_f64_e32 v[86:87], s[20:21], v[18:19]
	v_fmac_f64_e32 v[30:31], s[20:21], v[18:19]
	v_add_f64 v[66:67], v[28:29], -v[82:83]
	v_add_f64 v[82:83], v[82:83], v[28:29]
	v_add_f64 v[18:19], v[12:13], v[98:99]
	;; [unrolled: 1-line block ×3, first 2 shown]
	v_add_f64 v[2:3], v[2:3], -v[24:25]
	v_add_f64 v[24:25], v[0:1], v[10:11]
	v_add_f64 v[0:1], v[10:11], -v[0:1]
	v_add_f64 v[10:11], v[22:23], v[16:17]
	v_add_f64 v[32:33], v[64:65], v[78:79]
	;; [unrolled: 1-line block ×3, first 2 shown]
	v_add_f64 v[78:79], v[88:89], -v[30:31]
	v_add_f64 v[6:7], v[6:7], -v[96:97]
	v_add_f64 v[30:31], v[4:5], v[14:15]
	v_add_f64 v[4:5], v[14:15], -v[4:5]
	v_add_f64 v[14:15], v[28:29], v[18:19]
	v_add_f64 v[10:11], v[24:25], v[10:11]
	v_add_f64 v[70:71], v[36:37], -v[86:87]
	v_add_f64 v[86:87], v[86:87], v[36:37]
	v_add_f64 v[12:13], v[12:13], -v[98:99]
	v_add_f64 v[8:9], v[8:9], -v[94:95]
	v_add_f64 v[36:37], v[0:1], v[2:3]
	v_add_f64 v[88:89], v[0:1], -v[2:3]
	v_add_f64 v[92:93], v[6:7], -v[0:1]
	v_add_f64 v[14:15], v[30:31], v[14:15]
	v_add_f64 v[0:1], v[56:57], v[10:11]
	;; [unrolled: 1-line block ×4, first 2 shown]
	v_add_f64 v[80:81], v[90:91], -v[80:81]
	v_add_f64 v[84:85], v[32:33], -v[84:85]
	;; [unrolled: 1-line block ×8, first 2 shown]
	v_add_f64 v[38:39], v[4:5], v[8:9]
	v_add_f64 v[90:91], v[4:5], -v[8:9]
	v_add_f64 v[94:95], v[2:3], -v[6:7]
	;; [unrolled: 1-line block ×3, first 2 shown]
	v_add_f64 v[6:7], v[36:37], v[6:7]
	v_add_f64 v[2:3], v[58:59], v[14:15]
	v_mul_f64 v[36:37], v[88:89], s[8:9]
	v_mov_b64_e32 v[88:89], v[0:1]
	v_add_f64 v[4:5], v[12:13], -v[4:5]
	v_add_f64 v[12:13], v[38:39], v[12:13]
	v_mul_f64 v[16:17], v[16:17], s[6:7]
	v_mul_f64 v[18:19], v[18:19], s[6:7]
	;; [unrolled: 1-line block ×7, first 2 shown]
	v_fmac_f64_e32 v[88:89], s[10:11], v[10:11]
	v_mov_b64_e32 v[10:11], v[2:3]
	v_fmac_f64_e32 v[10:11], s[10:11], v[14:15]
	v_fma_f64 v[14:15], v[32:33], s[12:13], -v[24:25]
	v_fma_f64 v[24:25], v[34:35], s[12:13], -v[30:31]
	;; [unrolled: 1-line block ×3, first 2 shown]
	v_fmac_f64_e32 v[16:17], s[2:3], v[22:23]
	v_fma_f64 v[22:23], v[34:35], s[16:17], -v[18:19]
	v_fmac_f64_e32 v[18:19], s[2:3], v[28:29]
	v_fma_f64 v[28:29], v[94:95], s[4:5], -v[36:37]
	;; [unrolled: 2-line block ×3, first 2 shown]
	v_fmac_f64_e32 v[38:39], s[18:19], v[4:5]
	v_fmac_f64_e32 v[56:57], s[14:15], v[92:93]
	;; [unrolled: 1-line block ×3, first 2 shown]
	v_add_f64 v[34:35], v[16:17], v[88:89]
	v_add_f64 v[90:91], v[18:19], v[10:11]
	;; [unrolled: 1-line block ×6, first 2 shown]
	v_fmac_f64_e32 v[36:37], s[20:21], v[6:7]
	v_fmac_f64_e32 v[38:39], s[20:21], v[12:13]
	;; [unrolled: 1-line block ×6, first 2 shown]
	v_add_f64 v[4:5], v[38:39], v[34:35]
	v_add_f64 v[6:7], v[90:91], -v[36:37]
	v_add_f64 v[8:9], v[58:59], v[24:25]
	v_add_f64 v[10:11], v[30:31], -v[56:57]
	v_add_f64 v[12:13], v[16:17], -v[32:33]
	v_add_f64 v[14:15], v[28:29], v[18:19]
	v_add_f64 v[16:17], v[32:33], v[16:17]
	v_add_f64 v[18:19], v[18:19], -v[28:29]
	v_add_f64 v[22:23], v[24:25], -v[58:59]
	v_add_f64 v[24:25], v[56:57], v[30:31]
	v_add_f64 v[56:57], v[34:35], -v[38:39]
	v_add_f64 v[58:59], v[36:37], v[90:91]
	s_barrier
	ds_write_b128 v26, v[60:63]
	ds_write_b128 v26, v[68:71] offset:448
	ds_write_b128 v26, v[64:67] offset:896
	;; [unrolled: 1-line block ×6, first 2 shown]
	ds_write_b128 v21, v[0:3]
	ds_write_b128 v21, v[4:7] offset:448
	ds_write_b128 v21, v[8:11] offset:896
	;; [unrolled: 1-line block ×6, first 2 shown]
	s_waitcnt lgkmcnt(0)
	s_barrier
	ds_read_b128 v[0:3], v20
	ds_read_b128 v[4:7], v20 offset:3136
	ds_read_b128 v[8:11], v20 offset:6272
	;; [unrolled: 1-line block ×13, first 2 shown]
	s_waitcnt lgkmcnt(12)
	v_mul_f64 v[30:31], v[174:175], v[6:7]
	v_fmac_f64_e32 v[30:31], v[172:173], v[4:5]
	v_mul_f64 v[4:5], v[174:175], v[4:5]
	v_fma_f64 v[4:5], v[172:173], v[6:7], -v[4:5]
	s_waitcnt lgkmcnt(11)
	v_mul_f64 v[6:7], v[166:167], v[10:11]
	v_fmac_f64_e32 v[6:7], v[164:165], v[8:9]
	v_mul_f64 v[8:9], v[166:167], v[8:9]
	v_fma_f64 v[8:9], v[164:165], v[10:11], -v[8:9]
	;; [unrolled: 5-line block ×6, first 2 shown]
	s_waitcnt lgkmcnt(5)
	v_mul_f64 v[28:29], v[194:195], v[60:61]
	v_fma_f64 v[34:35], v[192:193], v[62:63], -v[28:29]
	s_waitcnt lgkmcnt(4)
	v_mul_f64 v[28:29], v[190:191], v[64:65]
	v_fma_f64 v[38:39], v[188:189], v[66:67], -v[28:29]
	s_waitcnt lgkmcnt(3)
	v_mul_f64 v[28:29], v[186:187], v[68:69]
	v_mul_f64 v[32:33], v[194:195], v[62:63]
	v_fma_f64 v[62:63], v[184:185], v[70:71], -v[28:29]
	s_waitcnt lgkmcnt(2)
	v_mul_f64 v[28:29], v[182:183], v[72:73]
	v_fmac_f64_e32 v[32:33], v[192:193], v[60:61]
	v_mul_f64 v[36:37], v[190:191], v[66:67]
	v_mul_f64 v[60:61], v[186:187], v[70:71]
	v_fma_f64 v[66:67], v[180:181], v[74:75], -v[28:29]
	s_waitcnt lgkmcnt(1)
	v_mul_f64 v[28:29], v[202:203], v[76:77]
	v_fmac_f64_e32 v[60:61], v[184:185], v[68:69]
	v_mul_f64 v[68:69], v[202:203], v[78:79]
	v_fma_f64 v[70:71], v[200:201], v[78:79], -v[28:29]
	s_waitcnt lgkmcnt(0)
	v_mul_f64 v[28:29], v[198:199], v[80:81]
	v_fmac_f64_e32 v[36:37], v[188:189], v[64:65]
	v_mul_f64 v[64:65], v[182:183], v[74:75]
	v_fmac_f64_e32 v[68:69], v[200:201], v[76:77]
	v_fma_f64 v[74:75], v[196:197], v[82:83], -v[28:29]
	v_add_f64 v[28:29], v[30:31], v[24:25]
	v_add_f64 v[76:77], v[4:5], v[26:27]
	v_add_f64 v[4:5], v[4:5], -v[26:27]
	v_add_f64 v[26:27], v[6:7], v[18:19]
	v_add_f64 v[24:25], v[30:31], -v[24:25]
	v_add_f64 v[30:31], v[8:9], v[22:23]
	v_add_f64 v[6:7], v[6:7], -v[18:19]
	v_add_f64 v[18:19], v[10:11], v[14:15]
	v_add_f64 v[10:11], v[14:15], -v[10:11]
	v_add_f64 v[14:15], v[26:27], v[28:29]
	v_add_f64 v[8:9], v[8:9], -v[22:23]
	v_add_f64 v[22:23], v[12:13], v[16:17]
	v_add_f64 v[12:13], v[16:17], -v[12:13]
	v_add_f64 v[16:17], v[30:31], v[76:77]
	v_add_f64 v[14:15], v[18:19], v[14:15]
	v_fmac_f64_e32 v[64:65], v[180:181], v[72:73]
	v_mul_f64 v[72:73], v[198:199], v[82:83]
	v_add_f64 v[16:17], v[22:23], v[16:17]
	v_add_f64 v[0:1], v[0:1], v[14:15]
	v_fmac_f64_e32 v[72:73], v[196:197], v[80:81]
	v_add_f64 v[78:79], v[26:27], -v[28:29]
	v_add_f64 v[80:81], v[30:31], -v[76:77]
	;; [unrolled: 1-line block ×6, first 2 shown]
	v_add_f64 v[82:83], v[10:11], v[6:7]
	v_add_f64 v[86:87], v[10:11], -v[6:7]
	v_add_f64 v[2:3], v[2:3], v[16:17]
	v_mov_b64_e32 v[90:91], v[0:1]
	v_add_f64 v[10:11], v[24:25], -v[10:11]
	v_add_f64 v[6:7], v[6:7], -v[24:25]
	v_add_f64 v[18:19], v[82:83], v[24:25]
	v_mul_f64 v[22:23], v[28:29], s[6:7]
	v_mul_f64 v[24:25], v[76:77], s[6:7]
	;; [unrolled: 1-line block ×5, first 2 shown]
	v_fmac_f64_e32 v[90:91], s[10:11], v[14:15]
	v_mov_b64_e32 v[14:15], v[2:3]
	v_mul_f64 v[86:87], v[6:7], s[22:23]
	v_fmac_f64_e32 v[14:15], s[10:11], v[16:17]
	v_fma_f64 v[16:17], v[78:79], s[12:13], -v[28:29]
	v_fma_f64 v[28:29], v[80:81], s[12:13], -v[76:77]
	;; [unrolled: 1-line block ×3, first 2 shown]
	v_fmac_f64_e32 v[22:23], s[2:3], v[26:27]
	v_fma_f64 v[26:27], v[80:81], s[16:17], -v[24:25]
	v_fmac_f64_e32 v[24:25], s[2:3], v[30:31]
	v_fma_f64 v[30:31], v[6:7], s[4:5], -v[82:83]
	v_fmac_f64_e32 v[82:83], s[18:19], v[10:11]
	v_fmac_f64_e32 v[86:87], s[14:15], v[10:11]
	v_add_f64 v[80:81], v[22:23], v[90:91]
	v_add_f64 v[22:23], v[28:29], v[14:15]
	v_fmac_f64_e32 v[30:31], s[20:21], v[18:19]
	v_add_f64 v[84:85], v[12:13], v[8:9]
	v_add_f64 v[88:89], v[12:13], -v[8:9]
	v_add_f64 v[8:9], v[8:9], -v[4:5]
	v_add_f64 v[92:93], v[24:25], v[14:15]
	v_add_f64 v[26:27], v[26:27], v[14:15]
	v_fmac_f64_e32 v[82:83], s[20:21], v[18:19]
	v_fmac_f64_e32 v[86:87], s[20:21], v[18:19]
	v_add_f64 v[14:15], v[30:31], v[22:23]
	v_add_f64 v[18:19], v[22:23], -v[30:31]
	v_add_f64 v[30:31], v[32:33], v[72:73]
	v_add_f64 v[32:33], v[32:33], -v[72:73]
	;; [unrolled: 2-line block ×3, first 2 shown]
	v_add_f64 v[4:5], v[84:85], v[4:5]
	v_mul_f64 v[84:85], v[88:89], s[8:9]
	v_mul_f64 v[88:89], v[8:9], s[22:23]
	v_add_f64 v[24:25], v[76:77], v[90:91]
	v_add_f64 v[76:77], v[34:35], v[74:75]
	v_add_f64 v[34:35], v[34:35], -v[74:75]
	v_add_f64 v[74:75], v[38:39], v[70:71]
	v_add_f64 v[36:37], v[36:37], -v[68:69]
	;; [unrolled: 2-line block ×3, first 2 shown]
	v_add_f64 v[64:65], v[72:73], v[30:31]
	v_fma_f64 v[78:79], v[8:9], s[4:5], -v[84:85]
	v_fmac_f64_e32 v[84:85], s[18:19], v[12:13]
	v_fmac_f64_e32 v[88:89], s[14:15], v[12:13]
	v_add_f64 v[38:39], v[38:39], -v[70:71]
	v_add_f64 v[70:71], v[62:63], v[66:67]
	v_add_f64 v[62:63], v[66:67], -v[62:63]
	v_add_f64 v[66:67], v[74:75], v[76:77]
	v_add_f64 v[64:65], v[68:69], v[64:65]
	;; [unrolled: 1-line block ×3, first 2 shown]
	v_fmac_f64_e32 v[84:85], s[20:21], v[4:5]
	v_fmac_f64_e32 v[78:79], s[20:21], v[4:5]
	;; [unrolled: 1-line block ×3, first 2 shown]
	v_add_f64 v[66:67], v[70:71], v[66:67]
	v_add_f64 v[56:57], v[56:57], v[64:65]
	v_add_f64 v[4:5], v[84:85], v[80:81]
	v_add_f64 v[6:7], v[92:93], -v[82:83]
	v_add_f64 v[8:9], v[88:89], v[24:25]
	v_add_f64 v[10:11], v[26:27], -v[86:87]
	v_add_f64 v[12:13], v[16:17], -v[78:79]
	v_add_f64 v[16:17], v[78:79], v[16:17]
	v_add_f64 v[22:23], v[24:25], -v[88:89]
	v_add_f64 v[24:25], v[86:87], v[26:27]
	;; [unrolled: 2-line block ×3, first 2 shown]
	v_add_f64 v[78:79], v[72:73], -v[30:31]
	v_add_f64 v[80:81], v[74:75], -v[76:77]
	;; [unrolled: 1-line block ×6, first 2 shown]
	v_add_f64 v[82:83], v[60:61], v[36:37]
	v_add_f64 v[84:85], v[62:63], v[38:39]
	v_add_f64 v[86:87], v[60:61], -v[36:37]
	v_add_f64 v[88:89], v[62:63], -v[38:39]
	v_add_f64 v[36:37], v[36:37], -v[32:33]
	v_add_f64 v[38:39], v[38:39], -v[34:35]
	v_add_f64 v[58:59], v[58:59], v[66:67]
	v_mov_b64_e32 v[90:91], v[56:57]
	v_add_f64 v[60:61], v[32:33], -v[60:61]
	v_add_f64 v[62:63], v[34:35], -v[62:63]
	v_add_f64 v[32:33], v[82:83], v[32:33]
	v_add_f64 v[34:35], v[84:85], v[34:35]
	v_mul_f64 v[30:31], v[30:31], s[6:7]
	v_mul_f64 v[68:69], v[76:77], s[6:7]
	;; [unrolled: 1-line block ×8, first 2 shown]
	v_fmac_f64_e32 v[90:91], s[10:11], v[64:65]
	v_mov_b64_e32 v[64:65], v[58:59]
	v_fmac_f64_e32 v[64:65], s[10:11], v[66:67]
	v_fma_f64 v[66:67], s[2:3], v[72:73], v[30:31]
	v_fma_f64 v[70:71], v[78:79], s[12:13], -v[70:71]
	v_fma_f64 v[72:73], v[80:81], s[12:13], -v[76:77]
	;; [unrolled: 1-line block ×4, first 2 shown]
	v_fmac_f64_e32 v[68:69], s[2:3], v[74:75]
	v_fma_f64 v[92:93], s[18:19], v[60:61], v[82:83]
	v_fma_f64 v[36:37], v[36:37], s[4:5], -v[82:83]
	v_fma_f64 v[38:39], v[38:39], s[4:5], -v[84:85]
	v_fmac_f64_e32 v[84:85], s[18:19], v[62:63]
	v_fmac_f64_e32 v[86:87], s[14:15], v[60:61]
	;; [unrolled: 1-line block ×3, first 2 shown]
	v_add_f64 v[80:81], v[66:67], v[90:91]
	v_add_f64 v[82:83], v[68:69], v[64:65]
	;; [unrolled: 1-line block ×6, first 2 shown]
	v_fmac_f64_e32 v[92:93], s[20:21], v[32:33]
	v_fmac_f64_e32 v[84:85], s[20:21], v[34:35]
	;; [unrolled: 1-line block ×6, first 2 shown]
	v_add_f64 v[60:61], v[84:85], v[80:81]
	v_add_f64 v[62:63], v[82:83], -v[92:93]
	v_add_f64 v[64:65], v[88:89], v[30:31]
	v_add_f64 v[66:67], v[90:91], -v[86:87]
	v_add_f64 v[68:69], v[74:75], -v[38:39]
	v_add_f64 v[70:71], v[36:37], v[78:79]
	v_add_f64 v[72:73], v[38:39], v[74:75]
	v_add_f64 v[74:75], v[78:79], -v[36:37]
	v_add_f64 v[76:77], v[30:31], -v[88:89]
	v_add_f64 v[78:79], v[86:87], v[90:91]
	v_add_f64 v[80:81], v[80:81], -v[84:85]
	v_add_f64 v[82:83], v[92:93], v[82:83]
	ds_write_b128 v20, v[0:3]
	ds_write_b128 v20, v[4:7] offset:3136
	ds_write_b128 v20, v[8:11] offset:6272
	;; [unrolled: 1-line block ×13, first 2 shown]
	s_waitcnt lgkmcnt(0)
	s_barrier
	ds_read_b128 v[0:3], v20
	v_accvgpr_read_b32 v6, a16
	v_accvgpr_read_b32 v8, a18
	;; [unrolled: 1-line block ×4, first 2 shown]
	s_waitcnt lgkmcnt(0)
	v_mul_f64 v[4:5], v[8:9], v[2:3]
	v_fmac_f64_e32 v[4:5], v[6:7], v[0:1]
	s_mov_b32 s2, 0x515a4f1d
	v_mul_f64 v[0:1], v[8:9], v[0:1]
	s_mov_b32 s3, 0x3f47e225
	v_fma_f64 v[0:1], v[6:7], v[2:3], -v[0:1]
	v_mul_f64 v[6:7], v[0:1], s[2:3]
	v_mad_u64_u32 v[0:1], s[4:5], s0, v240, 0
	v_mov_b32_e32 v2, v1
	v_mad_u64_u32 v[2:3], s[4:5], s1, v240, v[2:3]
	v_mov_b32_e32 v1, v2
	v_accvgpr_read_b32 v3, a1
	v_accvgpr_read_b32 v9, a7
	;; [unrolled: 1-line block ×4, first 2 shown]
	v_lshl_add_u64 v[2:3], v[8:9], 4, v[2:3]
	v_lshl_add_u64 v[8:9], v[0:1], 4, v[2:3]
	ds_read_b128 v[0:3], v20 offset:10976
	v_accvgpr_read_b32 v10, a24
	v_mul_f64 v[4:5], v[4:5], s[2:3]
	v_accvgpr_read_b32 v12, a26
	v_accvgpr_read_b32 v13, a27
	global_store_dwordx4 v[8:9], v[4:7], off
	v_accvgpr_read_b32 v11, a25
	s_waitcnt lgkmcnt(0)
	v_mul_f64 v[4:5], v[12:13], v[2:3]
	v_fmac_f64_e32 v[4:5], v[10:11], v[0:1]
	v_mul_f64 v[0:1], v[12:13], v[0:1]
	v_fma_f64 v[0:1], v[10:11], v[2:3], -v[0:1]
	v_mul_f64 v[6:7], v[0:1], s[2:3]
	ds_read_b128 v[0:3], v20 offset:1568
	v_mov_b32_e32 v10, 0x2ae0
	v_mad_u64_u32 v[8:9], s[4:5], s0, v10, v[8:9]
	s_mul_i32 s4, s1, 0x2ae0
	v_accvgpr_read_b32 v12, a12
	v_mul_f64 v[4:5], v[4:5], s[2:3]
	v_add_u32_e32 v9, s4, v9
	v_accvgpr_read_b32 v14, a14
	v_accvgpr_read_b32 v15, a15
	global_store_dwordx4 v[8:9], v[4:7], off
	v_accvgpr_read_b32 v13, a13
	s_mulk_i32 s1, 0xdb40
	s_waitcnt lgkmcnt(0)
	v_mul_f64 v[4:5], v[14:15], v[2:3]
	v_fmac_f64_e32 v[4:5], v[12:13], v[0:1]
	v_mul_f64 v[0:1], v[14:15], v[0:1]
	v_fma_f64 v[0:1], v[12:13], v[2:3], -v[0:1]
	v_mul_f64 v[6:7], v[0:1], s[2:3]
	ds_read_b128 v[0:3], v20 offset:12544
	v_mad_u64_u32 v[8:9], s[6:7], s0, v241, v[8:9]
	s_sub_i32 s1, s1, s0
	v_accvgpr_read_b32 v12, a20
	v_mul_f64 v[4:5], v[4:5], s[2:3]
	v_add_u32_e32 v9, s1, v9
	v_accvgpr_read_b32 v14, a22
	v_accvgpr_read_b32 v15, a23
	global_store_dwordx4 v[8:9], v[4:7], off
	v_accvgpr_read_b32 v13, a21
	v_mad_u64_u32 v[8:9], s[6:7], s0, v10, v[8:9]
	s_waitcnt lgkmcnt(0)
	v_mul_f64 v[4:5], v[14:15], v[2:3]
	v_fmac_f64_e32 v[4:5], v[12:13], v[0:1]
	v_mul_f64 v[0:1], v[14:15], v[0:1]
	v_fma_f64 v[0:1], v[12:13], v[2:3], -v[0:1]
	v_mul_f64 v[6:7], v[0:1], s[2:3]
	ds_read_b128 v[0:3], v20 offset:3136
	v_accvgpr_read_b32 v12, a28
	v_mul_f64 v[4:5], v[4:5], s[2:3]
	v_add_u32_e32 v9, s4, v9
	v_accvgpr_read_b32 v14, a30
	v_accvgpr_read_b32 v15, a31
	global_store_dwordx4 v[8:9], v[4:7], off
	v_accvgpr_read_b32 v13, a29
	v_mad_u64_u32 v[8:9], s[6:7], s0, v241, v[8:9]
	s_waitcnt lgkmcnt(0)
	v_mul_f64 v[4:5], v[14:15], v[2:3]
	v_fmac_f64_e32 v[4:5], v[12:13], v[0:1]
	v_mul_f64 v[0:1], v[14:15], v[0:1]
	v_fma_f64 v[0:1], v[12:13], v[2:3], -v[0:1]
	v_mul_f64 v[6:7], v[0:1], s[2:3]
	ds_read_b128 v[0:3], v20 offset:14112
	;; [unrolled: 15-line block ×4, first 2 shown]
	v_mul_f64 v[4:5], v[4:5], s[2:3]
	v_add_u32_e32 v9, s1, v9
	global_store_dwordx4 v[8:9], v[4:7], off
	v_mad_u64_u32 v[8:9], s[6:7], s0, v10, v[8:9]
	s_waitcnt lgkmcnt(0)
	v_mul_f64 v[4:5], v[238:239], v[2:3]
	v_fmac_f64_e32 v[4:5], v[236:237], v[0:1]
	v_mul_f64 v[0:1], v[238:239], v[0:1]
	v_fma_f64 v[0:1], v[236:237], v[2:3], -v[0:1]
	v_mul_f64 v[6:7], v[0:1], s[2:3]
	ds_read_b128 v[0:3], v20 offset:6272
	v_mul_f64 v[4:5], v[4:5], s[2:3]
	v_add_u32_e32 v9, s4, v9
	global_store_dwordx4 v[8:9], v[4:7], off
	v_mad_u64_u32 v[8:9], s[6:7], s0, v241, v[8:9]
	s_waitcnt lgkmcnt(0)
	v_mul_f64 v[4:5], v[42:43], v[2:3]
	v_fmac_f64_e32 v[4:5], v[40:41], v[0:1]
	v_mul_f64 v[0:1], v[42:43], v[0:1]
	v_fma_f64 v[0:1], v[40:41], v[2:3], -v[0:1]
	v_mul_f64 v[6:7], v[0:1], s[2:3]
	ds_read_b128 v[0:3], v20 offset:17248
	;; [unrolled: 11-line block ×4, first 2 shown]
	v_mul_f64 v[4:5], v[4:5], s[2:3]
	v_add_u32_e32 v9, s1, v9
	global_store_dwordx4 v[8:9], v[4:7], off
	v_accvgpr_read_b32 v15, a11
	v_accvgpr_read_b32 v14, a10
	s_waitcnt lgkmcnt(0)
	v_mul_f64 v[4:5], v[54:55], v[2:3]
	v_fmac_f64_e32 v[4:5], v[52:53], v[0:1]
	v_mul_f64 v[0:1], v[54:55], v[0:1]
	v_fma_f64 v[0:1], v[52:53], v[2:3], -v[0:1]
	v_mul_f64 v[6:7], v[0:1], s[2:3]
	v_mad_u64_u32 v[0:1], s[6:7], s0, v10, v[8:9]
	v_mul_f64 v[4:5], v[4:5], s[2:3]
	v_add_u32_e32 v1, s4, v1
	global_store_dwordx4 v[0:1], v[4:7], off
	ds_read_b128 v[2:5], v20 offset:9408
	v_accvgpr_read_b32 v13, a9
	v_accvgpr_read_b32 v12, a8
	v_mad_u64_u32 v[0:1], s[6:7], s0, v241, v[0:1]
	s_waitcnt lgkmcnt(0)
	v_mul_f64 v[6:7], v[14:15], v[4:5]
	v_fmac_f64_e32 v[6:7], v[12:13], v[2:3]
	v_mul_f64 v[2:3], v[14:15], v[2:3]
	v_fma_f64 v[2:3], v[12:13], v[4:5], -v[2:3]
	v_mul_f64 v[8:9], v[2:3], s[2:3]
	ds_read_b128 v[2:5], v20 offset:20384
	v_accvgpr_read_b32 v15, a5
	v_mul_f64 v[6:7], v[6:7], s[2:3]
	v_add_u32_e32 v1, s1, v1
	v_accvgpr_read_b32 v14, a4
	global_store_dwordx4 v[0:1], v[6:9], off
	v_accvgpr_read_b32 v13, a3
	v_accvgpr_read_b32 v12, a2
	s_waitcnt lgkmcnt(0)
	v_mul_f64 v[6:7], v[14:15], v[4:5]
	v_mov_b32_e32 v10, 0x2ae0
	v_fmac_f64_e32 v[6:7], v[12:13], v[2:3]
	v_mul_f64 v[2:3], v[14:15], v[2:3]
	v_fma_f64 v[2:3], v[12:13], v[4:5], -v[2:3]
	v_mad_u64_u32 v[0:1], s[0:1], s0, v10, v[0:1]
	v_mul_f64 v[6:7], v[6:7], s[2:3]
	v_mul_f64 v[8:9], v[2:3], s[2:3]
	v_add_u32_e32 v1, s4, v1
	global_store_dwordx4 v[0:1], v[6:9], off
.LBB0_2:
	s_endpgm
	.section	.rodata,"a",@progbits
	.p2align	6, 0x0
	.amdhsa_kernel bluestein_single_fwd_len1372_dim1_dp_op_CI_CI
		.amdhsa_group_segment_fixed_size 43904
		.amdhsa_private_segment_fixed_size 0
		.amdhsa_kernarg_size 104
		.amdhsa_user_sgpr_count 2
		.amdhsa_user_sgpr_dispatch_ptr 0
		.amdhsa_user_sgpr_queue_ptr 0
		.amdhsa_user_sgpr_kernarg_segment_ptr 1
		.amdhsa_user_sgpr_dispatch_id 0
		.amdhsa_user_sgpr_kernarg_preload_length 0
		.amdhsa_user_sgpr_kernarg_preload_offset 0
		.amdhsa_user_sgpr_private_segment_size 0
		.amdhsa_uses_dynamic_stack 0
		.amdhsa_enable_private_segment 0
		.amdhsa_system_sgpr_workgroup_id_x 1
		.amdhsa_system_sgpr_workgroup_id_y 0
		.amdhsa_system_sgpr_workgroup_id_z 0
		.amdhsa_system_sgpr_workgroup_info 0
		.amdhsa_system_vgpr_workitem_id 0
		.amdhsa_next_free_vgpr 309
		.amdhsa_next_free_sgpr 28
		.amdhsa_accum_offset 256
		.amdhsa_reserve_vcc 1
		.amdhsa_float_round_mode_32 0
		.amdhsa_float_round_mode_16_64 0
		.amdhsa_float_denorm_mode_32 3
		.amdhsa_float_denorm_mode_16_64 3
		.amdhsa_dx10_clamp 1
		.amdhsa_ieee_mode 1
		.amdhsa_fp16_overflow 0
		.amdhsa_tg_split 0
		.amdhsa_exception_fp_ieee_invalid_op 0
		.amdhsa_exception_fp_denorm_src 0
		.amdhsa_exception_fp_ieee_div_zero 0
		.amdhsa_exception_fp_ieee_overflow 0
		.amdhsa_exception_fp_ieee_underflow 0
		.amdhsa_exception_fp_ieee_inexact 0
		.amdhsa_exception_int_div_zero 0
	.end_amdhsa_kernel
	.text
.Lfunc_end0:
	.size	bluestein_single_fwd_len1372_dim1_dp_op_CI_CI, .Lfunc_end0-bluestein_single_fwd_len1372_dim1_dp_op_CI_CI
                                        ; -- End function
	.section	.AMDGPU.csdata,"",@progbits
; Kernel info:
; codeLenInByte = 18284
; NumSgprs: 34
; NumVgprs: 256
; NumAgprs: 53
; TotalNumVgprs: 309
; ScratchSize: 0
; MemoryBound: 0
; FloatMode: 240
; IeeeMode: 1
; LDSByteSize: 43904 bytes/workgroup (compile time only)
; SGPRBlocks: 4
; VGPRBlocks: 38
; NumSGPRsForWavesPerEU: 34
; NumVGPRsForWavesPerEU: 309
; AccumOffset: 256
; Occupancy: 1
; WaveLimiterHint : 1
; COMPUTE_PGM_RSRC2:SCRATCH_EN: 0
; COMPUTE_PGM_RSRC2:USER_SGPR: 2
; COMPUTE_PGM_RSRC2:TRAP_HANDLER: 0
; COMPUTE_PGM_RSRC2:TGID_X_EN: 1
; COMPUTE_PGM_RSRC2:TGID_Y_EN: 0
; COMPUTE_PGM_RSRC2:TGID_Z_EN: 0
; COMPUTE_PGM_RSRC2:TIDIG_COMP_CNT: 0
; COMPUTE_PGM_RSRC3_GFX90A:ACCUM_OFFSET: 63
; COMPUTE_PGM_RSRC3_GFX90A:TG_SPLIT: 0
	.text
	.p2alignl 6, 3212836864
	.fill 256, 4, 3212836864
	.type	__hip_cuid_f50817371feb7bcd,@object ; @__hip_cuid_f50817371feb7bcd
	.section	.bss,"aw",@nobits
	.globl	__hip_cuid_f50817371feb7bcd
__hip_cuid_f50817371feb7bcd:
	.byte	0                               ; 0x0
	.size	__hip_cuid_f50817371feb7bcd, 1

	.ident	"AMD clang version 19.0.0git (https://github.com/RadeonOpenCompute/llvm-project roc-6.4.0 25133 c7fe45cf4b819c5991fe208aaa96edf142730f1d)"
	.section	".note.GNU-stack","",@progbits
	.addrsig
	.addrsig_sym __hip_cuid_f50817371feb7bcd
	.amdgpu_metadata
---
amdhsa.kernels:
  - .agpr_count:     53
    .args:
      - .actual_access:  read_only
        .address_space:  global
        .offset:         0
        .size:           8
        .value_kind:     global_buffer
      - .actual_access:  read_only
        .address_space:  global
        .offset:         8
        .size:           8
        .value_kind:     global_buffer
      - .actual_access:  read_only
        .address_space:  global
        .offset:         16
        .size:           8
        .value_kind:     global_buffer
      - .actual_access:  read_only
        .address_space:  global
        .offset:         24
        .size:           8
        .value_kind:     global_buffer
      - .actual_access:  read_only
        .address_space:  global
        .offset:         32
        .size:           8
        .value_kind:     global_buffer
      - .offset:         40
        .size:           8
        .value_kind:     by_value
      - .address_space:  global
        .offset:         48
        .size:           8
        .value_kind:     global_buffer
      - .address_space:  global
        .offset:         56
        .size:           8
        .value_kind:     global_buffer
      - .address_space:  global
        .offset:         64
        .size:           8
        .value_kind:     global_buffer
      - .address_space:  global
        .offset:         72
        .size:           8
        .value_kind:     global_buffer
      - .offset:         80
        .size:           4
        .value_kind:     by_value
      - .address_space:  global
        .offset:         88
        .size:           8
        .value_kind:     global_buffer
      - .address_space:  global
        .offset:         96
        .size:           8
        .value_kind:     global_buffer
    .group_segment_fixed_size: 43904
    .kernarg_segment_align: 8
    .kernarg_segment_size: 104
    .language:       OpenCL C
    .language_version:
      - 2
      - 0
    .max_flat_workgroup_size: 196
    .name:           bluestein_single_fwd_len1372_dim1_dp_op_CI_CI
    .private_segment_fixed_size: 0
    .sgpr_count:     34
    .sgpr_spill_count: 0
    .symbol:         bluestein_single_fwd_len1372_dim1_dp_op_CI_CI.kd
    .uniform_work_group_size: 1
    .uses_dynamic_stack: false
    .vgpr_count:     309
    .vgpr_spill_count: 0
    .wavefront_size: 64
amdhsa.target:   amdgcn-amd-amdhsa--gfx950
amdhsa.version:
  - 1
  - 2
...

	.end_amdgpu_metadata
